;; amdgpu-corpus repo=ROCm/rocFFT kind=compiled arch=gfx950 opt=O3
	.text
	.amdgcn_target "amdgcn-amd-amdhsa--gfx950"
	.amdhsa_code_object_version 6
	.protected	fft_rtc_fwd_len816_factors_17_2_3_2_2_2_wgs_51_tpt_51_halfLds_sp_op_CI_CI_unitstride_sbrr_C2R_dirReg ; -- Begin function fft_rtc_fwd_len816_factors_17_2_3_2_2_2_wgs_51_tpt_51_halfLds_sp_op_CI_CI_unitstride_sbrr_C2R_dirReg
	.globl	fft_rtc_fwd_len816_factors_17_2_3_2_2_2_wgs_51_tpt_51_halfLds_sp_op_CI_CI_unitstride_sbrr_C2R_dirReg
	.p2align	8
	.type	fft_rtc_fwd_len816_factors_17_2_3_2_2_2_wgs_51_tpt_51_halfLds_sp_op_CI_CI_unitstride_sbrr_C2R_dirReg,@function
fft_rtc_fwd_len816_factors_17_2_3_2_2_2_wgs_51_tpt_51_halfLds_sp_op_CI_CI_unitstride_sbrr_C2R_dirReg: ; @fft_rtc_fwd_len816_factors_17_2_3_2_2_2_wgs_51_tpt_51_halfLds_sp_op_CI_CI_unitstride_sbrr_C2R_dirReg
; %bb.0:
	s_load_dwordx4 s[4:7], s[0:1], 0x58
	s_load_dwordx4 s[8:11], s[0:1], 0x0
	;; [unrolled: 1-line block ×3, first 2 shown]
	v_mul_u32_u24_e32 v1, 0x506, v0
	v_add_u32_sdwa v6, s2, v1 dst_sel:DWORD dst_unused:UNUSED_PAD src0_sel:DWORD src1_sel:WORD_1
	v_mov_b32_e32 v4, 0
	s_waitcnt lgkmcnt(0)
	v_cmp_lt_u64_e64 s[2:3], s[10:11], 2
	v_mov_b32_e32 v7, v4
	s_and_b64 vcc, exec, s[2:3]
	v_mov_b64_e32 v[2:3], 0
	s_cbranch_vccnz .LBB0_8
; %bb.1:
	s_load_dwordx2 s[2:3], s[0:1], 0x10
	s_add_u32 s16, s14, 8
	s_addc_u32 s17, s15, 0
	s_add_u32 s18, s12, 8
	s_addc_u32 s19, s13, 0
	s_waitcnt lgkmcnt(0)
	s_add_u32 s20, s2, 8
	v_mov_b64_e32 v[2:3], 0
	s_addc_u32 s21, s3, 0
	s_mov_b64 s[22:23], 1
	v_mov_b64_e32 v[32:33], v[2:3]
.LBB0_2:                                ; =>This Inner Loop Header: Depth=1
	s_load_dwordx2 s[24:25], s[20:21], 0x0
                                        ; implicit-def: $vgpr34_vgpr35
	s_waitcnt lgkmcnt(0)
	v_or_b32_e32 v5, s25, v7
	v_cmp_ne_u64_e32 vcc, 0, v[4:5]
	s_and_saveexec_b64 s[2:3], vcc
	s_xor_b64 s[26:27], exec, s[2:3]
	s_cbranch_execz .LBB0_4
; %bb.3:                                ;   in Loop: Header=BB0_2 Depth=1
	v_cvt_f32_u32_e32 v1, s24
	v_cvt_f32_u32_e32 v5, s25
	s_sub_u32 s2, 0, s24
	s_subb_u32 s3, 0, s25
	v_fmac_f32_e32 v1, 0x4f800000, v5
	v_rcp_f32_e32 v1, v1
	s_nop 0
	v_mul_f32_e32 v1, 0x5f7ffffc, v1
	v_mul_f32_e32 v5, 0x2f800000, v1
	v_trunc_f32_e32 v5, v5
	v_fmac_f32_e32 v1, 0xcf800000, v5
	v_cvt_u32_f32_e32 v5, v5
	v_cvt_u32_f32_e32 v1, v1
	v_mul_lo_u32 v8, s2, v5
	v_mul_hi_u32 v10, s2, v1
	v_mul_lo_u32 v9, s3, v1
	v_add_u32_e32 v10, v10, v8
	v_mul_lo_u32 v12, s2, v1
	v_add_u32_e32 v13, v10, v9
	v_mul_hi_u32 v8, v1, v12
	v_mul_hi_u32 v11, v1, v13
	v_mul_lo_u32 v10, v1, v13
	v_mov_b32_e32 v9, v4
	v_lshl_add_u64 v[8:9], v[8:9], 0, v[10:11]
	v_mul_hi_u32 v11, v5, v12
	v_mul_lo_u32 v12, v5, v12
	v_add_co_u32_e32 v8, vcc, v8, v12
	v_mul_hi_u32 v10, v5, v13
	s_nop 0
	v_addc_co_u32_e32 v8, vcc, v9, v11, vcc
	v_mov_b32_e32 v9, v4
	s_nop 0
	v_addc_co_u32_e32 v11, vcc, 0, v10, vcc
	v_mul_lo_u32 v10, v5, v13
	v_lshl_add_u64 v[8:9], v[8:9], 0, v[10:11]
	v_add_co_u32_e32 v1, vcc, v1, v8
	v_mul_lo_u32 v10, s2, v1
	s_nop 0
	v_addc_co_u32_e32 v5, vcc, v5, v9, vcc
	v_mul_lo_u32 v8, s2, v5
	v_mul_hi_u32 v9, s2, v1
	v_add_u32_e32 v8, v9, v8
	v_mul_lo_u32 v9, s3, v1
	v_add_u32_e32 v12, v8, v9
	v_mul_hi_u32 v14, v5, v10
	v_mul_lo_u32 v15, v5, v10
	v_mul_hi_u32 v9, v1, v12
	v_mul_lo_u32 v8, v1, v12
	v_mul_hi_u32 v10, v1, v10
	v_mov_b32_e32 v11, v4
	v_lshl_add_u64 v[8:9], v[10:11], 0, v[8:9]
	v_add_co_u32_e32 v8, vcc, v8, v15
	v_mul_hi_u32 v13, v5, v12
	s_nop 0
	v_addc_co_u32_e32 v8, vcc, v9, v14, vcc
	v_mul_lo_u32 v10, v5, v12
	s_nop 0
	v_addc_co_u32_e32 v11, vcc, 0, v13, vcc
	v_mov_b32_e32 v9, v4
	v_lshl_add_u64 v[8:9], v[8:9], 0, v[10:11]
	v_add_co_u32_e32 v1, vcc, v1, v8
	v_mul_hi_u32 v10, v6, v1
	s_nop 0
	v_addc_co_u32_e32 v5, vcc, v5, v9, vcc
	v_mad_u64_u32 v[8:9], s[2:3], v6, v5, 0
	v_mov_b32_e32 v11, v4
	v_lshl_add_u64 v[8:9], v[10:11], 0, v[8:9]
	v_mad_u64_u32 v[12:13], s[2:3], v7, v1, 0
	v_add_co_u32_e32 v1, vcc, v8, v12
	v_mad_u64_u32 v[10:11], s[2:3], v7, v5, 0
	s_nop 0
	v_addc_co_u32_e32 v8, vcc, v9, v13, vcc
	v_mov_b32_e32 v9, v4
	s_nop 0
	v_addc_co_u32_e32 v11, vcc, 0, v11, vcc
	v_lshl_add_u64 v[8:9], v[8:9], 0, v[10:11]
	v_mul_lo_u32 v1, s25, v8
	v_mul_lo_u32 v5, s24, v9
	v_mad_u64_u32 v[10:11], s[2:3], s24, v8, 0
	v_add3_u32 v1, v11, v5, v1
	v_sub_u32_e32 v5, v7, v1
	v_mov_b32_e32 v11, s25
	v_sub_co_u32_e32 v14, vcc, v6, v10
	v_lshl_add_u64 v[12:13], v[8:9], 0, 1
	s_nop 0
	v_subb_co_u32_e64 v5, s[2:3], v5, v11, vcc
	v_subrev_co_u32_e64 v10, s[2:3], s24, v14
	v_subb_co_u32_e32 v1, vcc, v7, v1, vcc
	s_nop 0
	v_subbrev_co_u32_e64 v5, s[2:3], 0, v5, s[2:3]
	v_cmp_le_u32_e64 s[2:3], s25, v5
	v_cmp_le_u32_e32 vcc, s25, v1
	s_nop 0
	v_cndmask_b32_e64 v11, 0, -1, s[2:3]
	v_cmp_le_u32_e64 s[2:3], s24, v10
	s_nop 1
	v_cndmask_b32_e64 v10, 0, -1, s[2:3]
	v_cmp_eq_u32_e64 s[2:3], s25, v5
	s_nop 1
	v_cndmask_b32_e64 v5, v11, v10, s[2:3]
	v_lshl_add_u64 v[10:11], v[8:9], 0, 2
	v_cmp_ne_u32_e64 s[2:3], 0, v5
	s_nop 1
	v_cndmask_b32_e64 v5, v13, v11, s[2:3]
	v_cndmask_b32_e64 v11, 0, -1, vcc
	v_cmp_le_u32_e32 vcc, s24, v14
	s_nop 1
	v_cndmask_b32_e64 v13, 0, -1, vcc
	v_cmp_eq_u32_e32 vcc, s25, v1
	s_nop 1
	v_cndmask_b32_e32 v1, v11, v13, vcc
	v_cmp_ne_u32_e32 vcc, 0, v1
	v_cndmask_b32_e64 v1, v12, v10, s[2:3]
	s_nop 0
	v_cndmask_b32_e32 v35, v9, v5, vcc
	v_cndmask_b32_e32 v34, v8, v1, vcc
.LBB0_4:                                ;   in Loop: Header=BB0_2 Depth=1
	s_andn2_saveexec_b64 s[2:3], s[26:27]
	s_cbranch_execz .LBB0_6
; %bb.5:                                ;   in Loop: Header=BB0_2 Depth=1
	v_cvt_f32_u32_e32 v1, s24
	s_sub_i32 s26, 0, s24
	v_mov_b32_e32 v35, v4
	v_rcp_iflag_f32_e32 v1, v1
	s_nop 0
	v_mul_f32_e32 v1, 0x4f7ffffe, v1
	v_cvt_u32_f32_e32 v1, v1
	v_mul_lo_u32 v5, s26, v1
	v_mul_hi_u32 v5, v1, v5
	v_add_u32_e32 v1, v1, v5
	v_mul_hi_u32 v1, v6, v1
	v_mul_lo_u32 v5, v1, s24
	v_sub_u32_e32 v5, v6, v5
	v_add_u32_e32 v8, 1, v1
	v_subrev_u32_e32 v9, s24, v5
	v_cmp_le_u32_e32 vcc, s24, v5
	s_nop 1
	v_cndmask_b32_e32 v5, v5, v9, vcc
	v_cndmask_b32_e32 v1, v1, v8, vcc
	v_add_u32_e32 v8, 1, v1
	v_cmp_le_u32_e32 vcc, s24, v5
	s_nop 1
	v_cndmask_b32_e32 v34, v1, v8, vcc
.LBB0_6:                                ;   in Loop: Header=BB0_2 Depth=1
	s_or_b64 exec, exec, s[2:3]
	v_mad_u64_u32 v[8:9], s[2:3], v34, s24, 0
	s_load_dwordx2 s[2:3], s[18:19], 0x0
	v_mul_lo_u32 v1, v35, s24
	v_mul_lo_u32 v5, v34, s25
	s_load_dwordx2 s[24:25], s[16:17], 0x0
	s_add_u32 s22, s22, 1
	v_add3_u32 v1, v9, v5, v1
	v_sub_co_u32_e32 v5, vcc, v6, v8
	s_addc_u32 s23, s23, 0
	s_nop 0
	v_subb_co_u32_e32 v1, vcc, v7, v1, vcc
	s_add_u32 s16, s16, 8
	s_waitcnt lgkmcnt(0)
	v_mul_lo_u32 v6, s2, v1
	v_mul_lo_u32 v7, s3, v5
	v_mad_u64_u32 v[2:3], s[2:3], s2, v5, v[2:3]
	s_addc_u32 s17, s17, 0
	v_add3_u32 v3, v7, v3, v6
	v_mul_lo_u32 v1, s24, v1
	v_mul_lo_u32 v6, s25, v5
	v_mad_u64_u32 v[32:33], s[2:3], s24, v5, v[32:33]
	s_add_u32 s18, s18, 8
	v_add3_u32 v33, v6, v33, v1
	s_addc_u32 s19, s19, 0
	v_mov_b64_e32 v[6:7], s[10:11]
	s_add_u32 s20, s20, 8
	v_cmp_ge_u64_e32 vcc, s[22:23], v[6:7]
	s_addc_u32 s21, s21, 0
	s_cbranch_vccnz .LBB0_9
; %bb.7:                                ;   in Loop: Header=BB0_2 Depth=1
	v_mov_b64_e32 v[6:7], v[34:35]
	s_branch .LBB0_2
.LBB0_8:
	v_mov_b64_e32 v[32:33], v[2:3]
	v_mov_b64_e32 v[34:35], v[6:7]
.LBB0_9:
	s_load_dwordx2 s[2:3], s[0:1], 0x28
	s_lshl_b64 s[16:17], s[10:11], 3
	s_add_u32 s10, s14, s16
	s_addc_u32 s11, s15, s17
                                        ; implicit-def: $vgpr36
                                        ; implicit-def: $vgpr42_vgpr43
	s_waitcnt lgkmcnt(0)
	v_cmp_gt_u64_e64 s[0:1], s[2:3], v[34:35]
	v_cmp_le_u64_e32 vcc, s[2:3], v[34:35]
	s_and_saveexec_b64 s[2:3], vcc
	s_xor_b64 s[2:3], exec, s[2:3]
; %bb.10:
	s_mov_b32 s14, 0x5050506
	v_mul_hi_u32 v1, v0, s14
	v_mul_u32_u24_e32 v1, 51, v1
	v_sub_u32_e32 v36, v0, v1
	v_mov_b32_e32 v37, 0
	v_mov_b64_e32 v[42:43], v[36:37]
                                        ; implicit-def: $vgpr0
                                        ; implicit-def: $vgpr2_vgpr3
; %bb.11:
	s_or_saveexec_b64 s[2:3], s[2:3]
	s_load_dwordx2 s[10:11], s[10:11], 0x0
	s_xor_b64 exec, exec, s[2:3]
	s_cbranch_execz .LBB0_15
; %bb.12:
	s_add_u32 s12, s12, s16
	s_addc_u32 s13, s13, s17
	s_load_dwordx2 s[12:13], s[12:13], 0x0
	s_mov_b32 s14, 0x5050506
	v_mov_b32_e32 v37, 0
	s_waitcnt lgkmcnt(0)
	v_mul_lo_u32 v1, s13, v34
	v_mul_lo_u32 v6, s12, v35
	v_mad_u64_u32 v[4:5], s[12:13], s12, v34, 0
	v_add3_u32 v5, v5, v6, v1
	v_mul_hi_u32 v1, v0, s14
	v_mul_u32_u24_e32 v1, 51, v1
	v_sub_u32_e32 v36, v0, v1
	v_lshl_add_u64 v[0:1], v[4:5], 3, s[4:5]
	v_lshl_add_u64 v[0:1], v[2:3], 3, v[0:1]
	v_lshlrev_b32_e32 v2, 3, v36
	v_mov_b32_e32 v3, v37
	v_lshl_add_u64 v[4:5], v[0:1], 0, v[2:3]
	s_movk_i32 s4, 0x1000
	v_add_co_u32_e32 v22, vcc, s4, v4
	global_load_dwordx2 v[6:7], v[4:5], off
	global_load_dwordx2 v[8:9], v[4:5], off offset:408
	global_load_dwordx2 v[10:11], v[4:5], off offset:816
	;; [unrolled: 1-line block ×7, first 2 shown]
	v_addc_co_u32_e32 v23, vcc, 0, v5, vcc
	global_load_dwordx2 v[24:25], v[4:5], off offset:3264
	global_load_dwordx2 v[26:27], v[4:5], off offset:3672
	;; [unrolled: 1-line block ×8, first 2 shown]
	v_add_u32_e32 v2, 0, v2
	v_cmp_eq_u32_e32 vcc, 50, v36
	v_add_u32_e32 v3, 0x800, v2
	v_add_u32_e32 v4, 0xc00, v2
	;; [unrolled: 1-line block ×3, first 2 shown]
	s_waitcnt vmcnt(14)
	ds_write2_b64 v2, v[6:7], v[8:9] offset1:51
	s_waitcnt vmcnt(12)
	ds_write2_b64 v2, v[10:11], v[12:13] offset0:102 offset1:153
	s_waitcnt vmcnt(10)
	ds_write2_b64 v2, v[14:15], v[16:17] offset0:204 offset1:255
	;; [unrolled: 2-line block ×7, first 2 shown]
	v_mov_b64_e32 v[42:43], v[36:37]
	s_and_saveexec_b64 s[4:5], vcc
	s_cbranch_execz .LBB0_14
; %bb.13:
	v_add_co_u32_e32 v0, vcc, 0x1000, v0
	v_mov_b32_e32 v36, 50
	s_nop 0
	v_addc_co_u32_e32 v1, vcc, 0, v1, vcc
	global_load_dwordx2 v[0:1], v[0:1], off offset:2432
	v_mov_b64_e32 v[42:43], 50
	s_waitcnt vmcnt(0)
	ds_write_b64 v37, v[0:1] offset:6528
.LBB0_14:
	s_or_b64 exec, exec, s[4:5]
.LBB0_15:
	s_or_b64 exec, exec, s[2:3]
	v_lshlrev_b32_e32 v0, 3, v36
	v_add_u32_e32 v176, 0, v0
	s_waitcnt lgkmcnt(0)
	; wave barrier
	s_waitcnt lgkmcnt(0)
	v_sub_u32_e32 v2, 0, v0
	ds_read_b32 v1, v176
	ds_read_b32 v3, v2 offset:6528
	s_add_u32 s2, s8, 0x18f8
	s_addc_u32 s3, s9, 0
	v_cmp_ne_u32_e32 vcc, 0, v36
	s_waitcnt lgkmcnt(0)
	v_add_f32_e32 v0, v3, v1
	v_sub_f32_e32 v1, v1, v3
	s_and_saveexec_b64 s[4:5], vcc
	s_xor_b64 s[4:5], exec, s[4:5]
	s_cbranch_execz .LBB0_17
; %bb.16:
	v_lshl_add_u64 v[4:5], v[42:43], 3, s[2:3]
	global_load_dwordx2 v[4:5], v[4:5], off
	ds_read_b32 v3, v2 offset:6532
	ds_read_b32 v9, v176 offset:4
	v_mov_b32_e32 v6, v1
	v_mov_b32_e32 v8, v0
	;; [unrolled: 1-line block ×3, first 2 shown]
	s_waitcnt lgkmcnt(0)
	v_add_f32_e32 v7, v3, v9
	v_sub_f32_e32 v9, v9, v3
	v_mov_b32_e32 v10, v7
	s_waitcnt vmcnt(0)
	v_pk_mul_f32 v[12:13], v[6:7], v[4:5] op_sel:[0,1]
	v_pk_fma_f32 v[6:7], v[6:7], v[4:5], v[8:9] op_sel:[0,1,0]
	v_mov_b32_e32 v1, v13
	v_mov_b32_e32 v13, v9
	v_pk_fma_f32 v[14:15], v[4:5], v[10:11], v[6:7] neg_lo:[1,0,0] neg_hi:[1,0,0]
	v_pk_fma_f32 v[6:7], v[4:5], v[10:11], v[6:7] op_sel_hi:[0,1,1]
	v_pk_add_f32 v[0:1], v[0:1], v[12:13] neg_lo:[0,1] neg_hi:[0,1]
	v_mov_b32_e32 v15, v7
	v_pk_fma_f32 v[0:1], v[4:5], v[10:11], v[0:1] op_sel_hi:[0,1,1]
	ds_write_b64 v2, v[0:1] offset:6528
	v_mov_b64_e32 v[0:1], v[14:15]
.LBB0_17:
	s_andn2_saveexec_b64 s[4:5], s[4:5]
	s_cbranch_execz .LBB0_19
; %bb.18:
	v_mov_b32_e32 v3, 0
	ds_read_b64 v[4:5], v3 offset:3264
	s_mov_b32 s12, 2.0
	s_mov_b32 s13, -2.0
	s_waitcnt lgkmcnt(0)
	v_pk_mul_f32 v[4:5], v[4:5], s[12:13]
	ds_write_b64 v3, v[4:5] offset:3264
.LBB0_19:
	s_or_b64 exec, exec, s[4:5]
	v_mov_b32_e32 v37, 0
	v_lshl_add_u64 v[4:5], v[36:37], 3, s[2:3]
	global_load_dwordx2 v[6:7], v[4:5], off offset:408
	global_load_dwordx2 v[8:9], v[4:5], off offset:816
	;; [unrolled: 1-line block ×4, first 2 shown]
	ds_write_b64 v176, v[0:1]
	ds_read_b64 v[0:1], v2 offset:6120
	ds_read_b64 v[14:15], v176 offset:408
	global_load_dwordx2 v[4:5], v[4:5], off offset:2040
	v_add_u32_e32 v38, 0x132, v36
	v_mov_b32_e32 v39, v37
	v_add_u32_e32 v40, 0x165, v36
	s_waitcnt lgkmcnt(0)
	v_pk_add_f32 v[16:17], v[14:15], v[0:1]
	v_pk_add_f32 v[0:1], v[14:15], v[0:1] neg_lo:[0,1] neg_hi:[0,1]
	v_mov_b32_e32 v14, v17
	v_mov_b32_e32 v15, v0
	;; [unrolled: 1-line block ×4, first 2 shown]
	v_lshl_add_u32 v177, v38, 3, 0
	v_lshl_add_u32 v178, v40, 3, 0
	v_add_u32_e32 v179, 0x1000, v176
	s_mov_b32 s18, 0xbeb8f4ab
	s_mov_b32 s12, 0x3f6eb680
	;; [unrolled: 1-line block ×10, first 2 shown]
	v_add_u32_e32 v180, 0x800, v176
	v_add_u32_e32 v181, 0xc00, v176
	s_mov_b32 s26, 0xbf4c4adb
	s_mov_b32 s24, 0xbf1a4643
	;; [unrolled: 1-line block ×6, first 2 shown]
	v_cmp_gt_u32_e32 vcc, 48, v36
	s_waitcnt vmcnt(4)
	v_pk_mul_f32 v[18:19], v[14:15], v[6:7] op_sel:[0,1]
	s_nop 0
	v_pk_add_f32 v[20:21], v[16:17], v[18:19] op_sel:[0,1] op_sel_hi:[1,0]
	v_mov_b32_e32 v17, v18
	v_mov_b32_e32 v0, v19
	v_pk_fma_f32 v[18:19], v[6:7], v[14:15], v[20:21] neg_lo:[1,0,0] neg_hi:[1,0,0]
	v_pk_fma_f32 v[20:21], v[6:7], v[14:15], v[20:21] op_sel_hi:[0,1,1]
	v_pk_add_f32 v[0:1], v[16:17], v[0:1] neg_lo:[0,1] neg_hi:[0,1]
	v_mov_b32_e32 v19, v21
	v_pk_fma_f32 v[0:1], v[6:7], v[14:15], v[0:1] op_sel_hi:[0,1,1]
	ds_write_b64 v176, v[18:19] offset:408
	ds_write_b64 v2, v[0:1] offset:6120
	v_lshl_add_u64 v[14:15], v[38:39], 3, s[2:3]
	ds_read_b64 v[0:1], v2 offset:5712
	ds_read_b64 v[6:7], v176 offset:816
	global_load_dwordx2 v[14:15], v[14:15], off
	s_waitcnt lgkmcnt(0)
	v_pk_add_f32 v[16:17], v[6:7], v[0:1]
	v_pk_add_f32 v[0:1], v[6:7], v[0:1] neg_lo:[0,1] neg_hi:[0,1]
	v_mov_b32_e32 v6, v17
	v_mov_b32_e32 v7, v0
	;; [unrolled: 1-line block ×3, first 2 shown]
	s_waitcnt vmcnt(4)
	v_pk_mul_f32 v[18:19], v[6:7], v[8:9] op_sel:[0,1]
	s_nop 0
	v_pk_add_f32 v[20:21], v[16:17], v[18:19] op_sel:[0,1] op_sel_hi:[1,0]
	v_mov_b32_e32 v17, v18
	v_mov_b32_e32 v0, v19
	v_pk_fma_f32 v[18:19], v[8:9], v[6:7], v[20:21] neg_lo:[1,0,0] neg_hi:[1,0,0]
	v_pk_fma_f32 v[20:21], v[8:9], v[6:7], v[20:21] op_sel_hi:[0,1,1]
	v_pk_add_f32 v[0:1], v[16:17], v[0:1] neg_lo:[0,1] neg_hi:[0,1]
	v_mov_b32_e32 v19, v21
	v_pk_fma_f32 v[0:1], v[8:9], v[6:7], v[0:1] op_sel_hi:[0,1,1]
	ds_write_b64 v176, v[18:19] offset:816
	ds_write_b64 v2, v[0:1] offset:5712
	v_lshl_add_u64 v[8:9], v[40:41], 3, s[2:3]
	ds_read_b64 v[0:1], v2 offset:5304
	ds_read_b64 v[6:7], v176 offset:1224
	global_load_dwordx2 v[8:9], v[8:9], off
	s_waitcnt lgkmcnt(0)
	v_pk_add_f32 v[16:17], v[6:7], v[0:1]
	v_pk_add_f32 v[0:1], v[6:7], v[0:1] neg_lo:[0,1] neg_hi:[0,1]
	v_mov_b32_e32 v6, v17
	v_mov_b32_e32 v7, v0
	;; [unrolled: 1-line block ×3, first 2 shown]
	s_waitcnt vmcnt(4)
	v_pk_mul_f32 v[18:19], v[6:7], v[10:11] op_sel:[0,1]
	s_nop 0
	v_pk_add_f32 v[20:21], v[16:17], v[18:19] op_sel:[0,1] op_sel_hi:[1,0]
	v_mov_b32_e32 v17, v18
	v_mov_b32_e32 v0, v19
	v_pk_fma_f32 v[18:19], v[10:11], v[6:7], v[20:21] neg_lo:[1,0,0] neg_hi:[1,0,0]
	v_pk_fma_f32 v[20:21], v[10:11], v[6:7], v[20:21] op_sel_hi:[0,1,1]
	v_pk_add_f32 v[0:1], v[16:17], v[0:1] neg_lo:[0,1] neg_hi:[0,1]
	v_mov_b32_e32 v19, v21
	v_pk_fma_f32 v[0:1], v[10:11], v[6:7], v[0:1] op_sel_hi:[0,1,1]
	ds_write_b64 v176, v[18:19] offset:1224
	ds_write_b64 v2, v[0:1] offset:5304
	ds_read_b64 v[0:1], v2 offset:4896
	ds_read_b64 v[6:7], v176 offset:1632
	s_waitcnt lgkmcnt(0)
	v_pk_add_f32 v[10:11], v[6:7], v[0:1]
	v_pk_add_f32 v[0:1], v[6:7], v[0:1] neg_lo:[0,1] neg_hi:[0,1]
	v_mov_b32_e32 v6, v11
	v_mov_b32_e32 v7, v0
	;; [unrolled: 1-line block ×3, first 2 shown]
	s_waitcnt vmcnt(3)
	v_pk_mul_f32 v[16:17], v[6:7], v[12:13] op_sel:[0,1]
	s_nop 0
	v_pk_add_f32 v[18:19], v[10:11], v[16:17] op_sel:[0,1] op_sel_hi:[1,0]
	v_mov_b32_e32 v11, v16
	v_mov_b32_e32 v0, v17
	v_pk_fma_f32 v[16:17], v[12:13], v[6:7], v[18:19] neg_lo:[1,0,0] neg_hi:[1,0,0]
	v_pk_fma_f32 v[18:19], v[12:13], v[6:7], v[18:19] op_sel_hi:[0,1,1]
	v_pk_add_f32 v[0:1], v[10:11], v[0:1] neg_lo:[0,1] neg_hi:[0,1]
	v_mov_b32_e32 v17, v19
	v_pk_fma_f32 v[0:1], v[12:13], v[6:7], v[0:1] op_sel_hi:[0,1,1]
	ds_write_b64 v176, v[16:17] offset:1632
	ds_write_b64 v2, v[0:1] offset:4896
	ds_read_b64 v[0:1], v2 offset:4488
	ds_read_b64 v[6:7], v176 offset:2040
	s_waitcnt lgkmcnt(0)
	v_pk_add_f32 v[10:11], v[6:7], v[0:1]
	v_pk_add_f32 v[0:1], v[6:7], v[0:1] neg_lo:[0,1] neg_hi:[0,1]
	v_mov_b32_e32 v6, v11
	v_mov_b32_e32 v7, v0
	;; [unrolled: 1-line block ×3, first 2 shown]
	s_waitcnt vmcnt(2)
	v_pk_mul_f32 v[12:13], v[6:7], v[4:5] op_sel:[0,1]
	s_nop 0
	v_pk_add_f32 v[16:17], v[10:11], v[12:13] op_sel:[0,1] op_sel_hi:[1,0]
	v_mov_b32_e32 v11, v12
	v_mov_b32_e32 v0, v13
	v_pk_fma_f32 v[12:13], v[4:5], v[6:7], v[16:17] neg_lo:[1,0,0] neg_hi:[1,0,0]
	v_pk_fma_f32 v[16:17], v[4:5], v[6:7], v[16:17] op_sel_hi:[0,1,1]
	v_pk_add_f32 v[0:1], v[10:11], v[0:1] neg_lo:[0,1] neg_hi:[0,1]
	v_mov_b32_e32 v13, v17
	v_pk_fma_f32 v[0:1], v[4:5], v[6:7], v[0:1] op_sel_hi:[0,1,1]
	ds_write_b64 v176, v[12:13] offset:2040
	ds_write_b64 v2, v[0:1] offset:4488
	ds_read_b64 v[0:1], v2 offset:4080
	ds_read_b64 v[4:5], v177
	s_waitcnt lgkmcnt(0)
	v_pk_add_f32 v[6:7], v[4:5], v[0:1]
	v_pk_add_f32 v[0:1], v[4:5], v[0:1] neg_lo:[0,1] neg_hi:[0,1]
	v_mov_b32_e32 v4, v7
	v_mov_b32_e32 v5, v0
	;; [unrolled: 1-line block ×3, first 2 shown]
	s_waitcnt vmcnt(1)
	v_pk_mul_f32 v[10:11], v[4:5], v[14:15] op_sel:[0,1]
	s_nop 0
	v_pk_add_f32 v[12:13], v[6:7], v[10:11] op_sel:[0,1] op_sel_hi:[1,0]
	v_mov_b32_e32 v7, v10
	v_mov_b32_e32 v0, v11
	v_pk_fma_f32 v[10:11], v[14:15], v[4:5], v[12:13] neg_lo:[1,0,0] neg_hi:[1,0,0]
	v_pk_fma_f32 v[12:13], v[14:15], v[4:5], v[12:13] op_sel_hi:[0,1,1]
	v_pk_add_f32 v[0:1], v[6:7], v[0:1] neg_lo:[0,1] neg_hi:[0,1]
	v_mov_b32_e32 v11, v13
	v_pk_fma_f32 v[0:1], v[14:15], v[4:5], v[0:1] op_sel_hi:[0,1,1]
	ds_write_b64 v177, v[10:11]
	ds_write_b64 v2, v[0:1] offset:4080
	ds_read_b64 v[0:1], v2 offset:3672
	ds_read_b64 v[4:5], v178
	s_waitcnt lgkmcnt(0)
	v_pk_add_f32 v[6:7], v[4:5], v[0:1]
	v_pk_add_f32 v[0:1], v[4:5], v[0:1] neg_lo:[0,1] neg_hi:[0,1]
	v_mov_b32_e32 v4, v7
	v_mov_b32_e32 v5, v0
	;; [unrolled: 1-line block ×3, first 2 shown]
	s_waitcnt vmcnt(0)
	v_pk_mul_f32 v[10:11], v[4:5], v[8:9] op_sel:[0,1]
	s_nop 0
	v_pk_add_f32 v[12:13], v[6:7], v[10:11] op_sel:[0,1] op_sel_hi:[1,0]
	v_mov_b32_e32 v7, v10
	v_mov_b32_e32 v0, v11
	v_pk_fma_f32 v[10:11], v[8:9], v[4:5], v[12:13] neg_lo:[1,0,0] neg_hi:[1,0,0]
	v_pk_fma_f32 v[12:13], v[8:9], v[4:5], v[12:13] op_sel_hi:[0,1,1]
	v_pk_add_f32 v[0:1], v[6:7], v[0:1] neg_lo:[0,1] neg_hi:[0,1]
	v_mov_b32_e32 v11, v13
	v_pk_fma_f32 v[0:1], v[8:9], v[4:5], v[0:1] op_sel_hi:[0,1,1]
	ds_write_b64 v178, v[10:11]
	ds_write_b64 v2, v[0:1] offset:3672
	s_waitcnt lgkmcnt(0)
	; wave barrier
	s_waitcnt lgkmcnt(0)
	s_waitcnt lgkmcnt(0)
	; wave barrier
	s_waitcnt lgkmcnt(0)
	ds_read2_b64 v[0:3], v176 offset1:48
	ds_read_b64 v[46:47], v176 offset:6144
	ds_read2_b64 v[12:15], v176 offset0:96 offset1:144
	ds_read2_b64 v[4:7], v179 offset0:160 offset1:208
	;; [unrolled: 1-line block ×4, first 2 shown]
	s_waitcnt lgkmcnt(4)
	v_pk_add_f32 v[54:55], v[2:3], v[46:47] neg_lo:[0,1] neg_hi:[0,1]
	v_pk_add_f32 v[52:53], v[46:47], v[2:3]
	s_waitcnt lgkmcnt(2)
	v_pk_add_f32 v[50:51], v[12:13], v[6:7] neg_lo:[0,1] neg_hi:[0,1]
	v_pk_mul_f32 v[20:21], v[54:55], s[18:19] op_sel_hi:[1,0]
	v_pk_add_f32 v[48:49], v[6:7], v[12:13]
	v_pk_fma_f32 v[72:73], v[52:53], s[12:13], v[20:21] op_sel:[0,0,1] op_sel_hi:[1,0,0] neg_lo:[0,0,1] neg_hi:[0,0,1]
	v_pk_fma_f32 v[74:75], v[52:53], s[12:13], v[20:21] op_sel:[0,0,1] op_sel_hi:[1,0,0]
	v_pk_mul_f32 v[22:23], v[50:51], s[36:37] op_sel_hi:[1,0]
	v_mov_b32_e32 v20, v74
	v_mov_b32_e32 v21, v73
	v_pk_fma_f32 v[78:79], v[48:49], s[4:5], v[22:23] op_sel:[0,0,1] op_sel_hi:[1,0,0] neg_lo:[0,0,1] neg_hi:[0,0,1]
	v_pk_fma_f32 v[80:81], v[48:49], s[4:5], v[22:23] op_sel:[0,0,1] op_sel_hi:[1,0,0]
	v_pk_add_f32 v[20:21], v[0:1], v[20:21]
	v_mov_b32_e32 v22, v80
	v_mov_b32_e32 v23, v79
	v_pk_add_f32 v[58:59], v[14:15], v[4:5] neg_lo:[0,1] neg_hi:[0,1]
	v_pk_add_f32 v[20:21], v[22:23], v[20:21]
	v_pk_add_f32 v[56:57], v[4:5], v[14:15]
	v_pk_mul_f32 v[22:23], v[58:59], s[42:43] op_sel_hi:[1,0]
	s_waitcnt lgkmcnt(0)
	v_pk_add_f32 v[62:63], v[16:17], v[10:11] neg_lo:[0,1] neg_hi:[0,1]
	v_pk_fma_f32 v[84:85], v[56:57], s[16:17], v[22:23] op_sel:[0,0,1] op_sel_hi:[1,0,0] neg_lo:[0,0,1] neg_hi:[0,0,1]
	v_pk_fma_f32 v[86:87], v[56:57], s[16:17], v[22:23] op_sel:[0,0,1] op_sel_hi:[1,0,0]
	v_mov_b32_e32 v23, v85
	v_mov_b32_e32 v22, v86
	v_pk_add_f32 v[20:21], v[22:23], v[20:21]
	v_pk_add_f32 v[60:61], v[10:11], v[16:17]
	v_pk_mul_f32 v[22:23], v[62:63], s[34:35] op_sel_hi:[1,0]
	v_pk_add_f32 v[66:67], v[18:19], v[8:9] neg_lo:[0,1] neg_hi:[0,1]
	v_pk_fma_f32 v[88:89], v[60:61], s[14:15], v[22:23] op_sel:[0,0,1] op_sel_hi:[1,0,0] neg_lo:[0,0,1] neg_hi:[0,0,1]
	v_pk_fma_f32 v[90:91], v[60:61], s[14:15], v[22:23] op_sel:[0,0,1] op_sel_hi:[1,0,0]
	v_mov_b32_e32 v23, v89
	v_mov_b32_e32 v22, v90
	v_pk_add_f32 v[28:29], v[22:23], v[20:21]
	v_pk_add_f32 v[64:65], v[8:9], v[18:19]
	v_pk_mul_f32 v[20:21], v[66:67], s[22:23] op_sel_hi:[1,0]
	s_nop 0
	v_pk_fma_f32 v[94:95], v[64:65], s[20:21], v[20:21] op_sel:[0,0,1] op_sel_hi:[1,0,0] neg_lo:[0,0,1] neg_hi:[0,0,1]
	v_pk_fma_f32 v[96:97], v[64:65], s[20:21], v[20:21] op_sel:[0,0,1] op_sel_hi:[1,0,0]
	ds_read2_b64 v[24:27], v180 offset0:32 offset1:80
	ds_read2_b64 v[20:23], v181 offset0:96 offset1:144
	v_mov_b32_e32 v30, v96
	v_mov_b32_e32 v31, v95
	v_pk_add_f32 v[28:29], v[30:31], v[28:29]
	s_waitcnt lgkmcnt(0)
	v_pk_add_f32 v[70:71], v[24:25], v[22:23] neg_lo:[0,1] neg_hi:[0,1]
	v_pk_add_f32 v[68:69], v[22:23], v[24:25]
	v_pk_mul_f32 v[30:31], v[70:71], s[26:27] op_sel_hi:[1,0]
	v_pk_add_f32 v[82:83], v[26:27], v[20:21] neg_lo:[0,1] neg_hi:[0,1]
	v_pk_fma_f32 v[100:101], v[68:69], s[24:25], v[30:31] op_sel:[0,0,1] op_sel_hi:[1,0,0] neg_lo:[0,0,1] neg_hi:[0,0,1]
	v_pk_fma_f32 v[102:103], v[68:69], s[24:25], v[30:31] op_sel:[0,0,1] op_sel_hi:[1,0,0]
	v_mov_b32_e32 v31, v101
	v_mov_b32_e32 v30, v102
	v_pk_add_f32 v[44:45], v[30:31], v[28:29]
	v_pk_add_f32 v[76:77], v[20:21], v[26:27]
	v_pk_mul_f32 v[28:29], v[82:83], s[30:31] op_sel_hi:[1,0]
	s_nop 0
	v_pk_fma_f32 v[104:105], v[76:77], s[28:29], v[28:29] op_sel:[0,0,1] op_sel_hi:[1,0,0] neg_lo:[0,0,1] neg_hi:[0,0,1]
	v_pk_fma_f32 v[106:107], v[76:77], s[28:29], v[28:29] op_sel:[0,0,1] op_sel_hi:[1,0,0]
	ds_read2_b64 v[28:31], v180 offset0:128 offset1:176
	v_mov_b32_e32 v92, v106
	v_mov_b32_e32 v93, v105
	v_pk_add_f32 v[44:45], v[92:93], v[44:45]
	s_waitcnt lgkmcnt(0)
	v_pk_add_f32 v[98:99], v[28:29], v[30:31] neg_lo:[0,1] neg_hi:[0,1]
	v_pk_add_f32 v[92:93], v[30:31], v[28:29]
	v_pk_mul_f32 v[110:111], v[98:99], s[40:41] op_sel_hi:[1,0]
	; wave barrier
	s_nop 0
	v_pk_fma_f32 v[108:109], v[92:93], s[38:39], v[110:111] op_sel:[0,0,1] op_sel_hi:[1,0,0] neg_lo:[0,0,1] neg_hi:[0,0,1]
	v_pk_fma_f32 v[110:111], v[92:93], s[38:39], v[110:111] op_sel:[0,0,1] op_sel_hi:[1,0,0]
	v_mov_b32_e32 v113, v109
	v_mov_b32_e32 v112, v110
	v_pk_add_f32 v[44:45], v[112:113], v[44:45]
	s_and_saveexec_b64 s[2:3], vcc
	s_cbranch_execz .LBB0_21
; %bb.20:
	v_pk_add_f32 v[2:3], v[0:1], v[2:3]
	v_mov_b32_e32 v73, v75
	v_pk_add_f32 v[2:3], v[2:3], v[12:13]
	v_mov_b32_e32 v79, v81
	;; [unrolled: 2-line block ×8, first 2 shown]
	v_pk_add_f32 v[2:3], v[2:3], v[30:31]
	v_lshl_add_u32 v182, v36, 7, v176
	v_pk_add_f32 v[2:3], v[2:3], v[20:21]
	s_mov_b32 s52, 0x3f06c442
	v_pk_add_f32 v[2:3], v[2:3], v[22:23]
	s_mov_b32 s50, 0x3f763a35
	v_pk_add_f32 v[2:3], v[2:3], v[8:9]
	v_pk_mul_f32 v[8:9], v[50:51], s[34:35] op_sel_hi:[1,0]
	v_pk_add_f32 v[2:3], v[2:3], v[10:11]
	s_mov_b32 s44, 0x3f65296c
	v_pk_add_f32 v[2:3], v[2:3], v[4:5]
	v_pk_add_f32 v[4:5], v[0:1], v[72:73]
	;; [unrolled: 1-line block ×6, first 2 shown]
	s_mov_b32 s46, 0x3eb8f4ab
	v_pk_add_f32 v[4:5], v[88:89], v[4:5]
	v_pk_mul_f32 v[80:81], v[50:51], s[26:27] op_sel_hi:[1,0]
	v_pk_add_f32 v[4:5], v[94:95], v[4:5]
	s_mov_b32 s48, 0x3e3c28d5
	v_pk_add_f32 v[4:5], v[100:101], v[4:5]
	v_pk_mul_f32 v[118:119], v[50:51], s[40:41] op_sel_hi:[1,0]
	v_pk_add_f32 v[4:5], v[104:105], v[4:5]
	s_mov_b32 s54, 0x3f4c4adb
	v_pk_add_f32 v[4:5], v[108:109], v[4:5]
	ds_write2_b64 v182, v[2:3], v[4:5] offset1:1
	v_pk_mul_f32 v[4:5], v[54:55], s[36:37] op_sel_hi:[1,0]
	v_pk_mul_f32 v[190:191], v[50:51], s[50:51] op_sel_hi:[1,0]
	v_pk_fma_f32 v[2:3], v[52:53], s[4:5], v[4:5] op_sel:[0,0,1] op_sel_hi:[1,0,0] neg_lo:[0,0,1] neg_hi:[0,0,1]
	v_pk_fma_f32 v[4:5], v[52:53], s[4:5], v[4:5] op_sel:[0,0,1] op_sel_hi:[1,0,0]
	v_mov_b32_e32 v6, v2
	v_mov_b32_e32 v7, v5
	v_pk_add_f32 v[10:11], v[0:1], v[6:7]
	v_pk_fma_f32 v[6:7], v[48:49], s[14:15], v[8:9] op_sel:[0,0,1] op_sel_hi:[1,0,0] neg_lo:[0,0,1] neg_hi:[0,0,1]
	v_pk_fma_f32 v[8:9], v[48:49], s[14:15], v[8:9] op_sel:[0,0,1] op_sel_hi:[1,0,0]
	v_mov_b32_e32 v12, v6
	v_mov_b32_e32 v13, v9
	v_pk_add_f32 v[14:15], v[12:13], v[10:11]
	v_pk_mul_f32 v[12:13], v[58:59], s[26:27] op_sel_hi:[1,0]
	v_pk_fma_f32 v[192:193], v[48:49], s[20:21], v[190:191] op_sel:[0,0,1] op_sel_hi:[1,0,0] neg_lo:[0,0,1] neg_hi:[0,0,1]
	v_pk_fma_f32 v[10:11], v[56:57], s[24:25], v[12:13] op_sel:[0,0,1] op_sel_hi:[1,0,0] neg_lo:[0,0,1] neg_hi:[0,0,1]
	v_pk_fma_f32 v[12:13], v[56:57], s[24:25], v[12:13] op_sel:[0,0,1] op_sel_hi:[1,0,0]
	v_mov_b32_e32 v16, v10
	v_mov_b32_e32 v17, v13
	v_pk_add_f32 v[18:19], v[16:17], v[14:15]
	v_pk_mul_f32 v[16:17], v[62:63], s[40:41] op_sel_hi:[1,0]
	v_pk_fma_f32 v[190:191], v[48:49], s[20:21], v[190:191] op_sel:[0,0,1] op_sel_hi:[1,0,0]
	v_pk_fma_f32 v[14:15], v[60:61], s[38:39], v[16:17] op_sel:[0,0,1] op_sel_hi:[1,0,0] neg_lo:[0,0,1] neg_hi:[0,0,1]
	v_pk_fma_f32 v[16:17], v[60:61], s[38:39], v[16:17] op_sel:[0,0,1] op_sel_hi:[1,0,0]
	v_mov_b32_e32 v20, v14
	v_mov_b32_e32 v21, v17
	v_pk_add_f32 v[22:23], v[20:21], v[18:19]
	v_pk_mul_f32 v[20:21], v[66:67], s[52:53] op_sel_hi:[1,0]
	v_mov_b32_e32 v194, v192
	v_pk_fma_f32 v[18:19], v[64:65], s[28:29], v[20:21] op_sel:[0,0,1] op_sel_hi:[1,0,0] neg_lo:[0,0,1] neg_hi:[0,0,1]
	v_pk_fma_f32 v[20:21], v[64:65], s[28:29], v[20:21] op_sel:[0,0,1] op_sel_hi:[1,0,0]
	v_mov_b32_e32 v24, v18
	v_mov_b32_e32 v25, v21
	v_pk_add_f32 v[26:27], v[24:25], v[22:23]
	v_pk_mul_f32 v[24:25], v[70:71], s[50:51] op_sel_hi:[1,0]
	v_mov_b32_e32 v195, v191
	v_pk_fma_f32 v[22:23], v[68:69], s[20:21], v[24:25] op_sel:[0,0,1] op_sel_hi:[1,0,0] neg_lo:[0,0,1] neg_hi:[0,0,1]
	v_pk_fma_f32 v[24:25], v[68:69], s[20:21], v[24:25] op_sel:[0,0,1] op_sel_hi:[1,0,0]
	v_mov_b32_e32 v28, v22
	v_mov_b32_e32 v29, v25
	v_pk_add_f32 v[30:31], v[28:29], v[26:27]
	v_pk_mul_f32 v[28:29], v[82:83], s[44:45] op_sel_hi:[1,0]
	v_pk_mul_f32 v[224:225], v[50:51], s[44:45] op_sel_hi:[1,0]
	v_pk_fma_f32 v[26:27], v[76:77], s[16:17], v[28:29] op_sel:[0,0,1] op_sel_hi:[1,0,0] neg_lo:[0,0,1] neg_hi:[0,0,1]
	v_pk_fma_f32 v[28:29], v[76:77], s[16:17], v[28:29] op_sel:[0,0,1] op_sel_hi:[1,0,0]
	v_mov_b32_e32 v46, v26
	v_mov_b32_e32 v47, v29
	v_pk_add_f32 v[72:73], v[46:47], v[30:31]
	v_pk_mul_f32 v[46:47], v[98:99], s[46:47] op_sel_hi:[1,0]
	v_pk_fma_f32 v[226:227], v[48:49], s[16:17], v[224:225] op_sel:[0,0,1] op_sel_hi:[1,0,0] neg_lo:[0,0,1] neg_hi:[0,0,1]
	v_pk_fma_f32 v[30:31], v[92:93], s[12:13], v[46:47] op_sel:[0,0,1] op_sel_hi:[1,0,0] neg_lo:[0,0,1] neg_hi:[0,0,1]
	v_pk_fma_f32 v[46:47], v[92:93], s[12:13], v[46:47] op_sel:[0,0,1] op_sel_hi:[1,0,0]
	v_mov_b32_e32 v74, v30
	v_mov_b32_e32 v75, v47
	v_pk_add_f32 v[112:113], v[74:75], v[72:73]
	v_pk_mul_f32 v[74:75], v[54:55], s[42:43] op_sel_hi:[1,0]
	v_pk_fma_f32 v[224:225], v[48:49], s[16:17], v[224:225] op_sel:[0,0,1] op_sel_hi:[1,0,0]
	v_pk_fma_f32 v[72:73], v[52:53], s[16:17], v[74:75] op_sel:[0,0,1] op_sel_hi:[1,0,0] neg_lo:[0,0,1] neg_hi:[0,0,1]
	v_pk_fma_f32 v[74:75], v[52:53], s[16:17], v[74:75] op_sel:[0,0,1] op_sel_hi:[1,0,0]
	v_mov_b32_e32 v78, v72
	v_mov_b32_e32 v79, v75
	v_pk_add_f32 v[84:85], v[0:1], v[78:79]
	v_pk_fma_f32 v[78:79], v[48:49], s[24:25], v[80:81] op_sel:[0,0,1] op_sel_hi:[1,0,0] neg_lo:[0,0,1] neg_hi:[0,0,1]
	v_pk_fma_f32 v[80:81], v[48:49], s[24:25], v[80:81] op_sel:[0,0,1] op_sel_hi:[1,0,0]
	v_mov_b32_e32 v86, v78
	v_mov_b32_e32 v87, v81
	v_pk_add_f32 v[88:89], v[86:87], v[84:85]
	v_pk_mul_f32 v[86:87], v[58:59], s[48:49] op_sel_hi:[1,0]
	s_mov_b32 s48, 0x3f2c7751
	v_pk_fma_f32 v[84:85], v[56:57], s[38:39], v[86:87] op_sel:[0,0,1] op_sel_hi:[1,0,0] neg_lo:[0,0,1] neg_hi:[0,0,1]
	v_pk_fma_f32 v[86:87], v[56:57], s[38:39], v[86:87] op_sel:[0,0,1] op_sel_hi:[1,0,0]
	v_mov_b32_e32 v90, v84
	v_mov_b32_e32 v91, v87
	v_pk_add_f32 v[94:95], v[90:91], v[88:89]
	v_pk_mul_f32 v[90:91], v[62:63], s[50:51] op_sel_hi:[1,0]
	v_mov_b32_e32 v228, v226
	v_pk_fma_f32 v[88:89], v[60:61], s[20:21], v[90:91] op_sel:[0,0,1] op_sel_hi:[1,0,0] neg_lo:[0,0,1] neg_hi:[0,0,1]
	v_pk_fma_f32 v[90:91], v[60:61], s[20:21], v[90:91] op_sel:[0,0,1] op_sel_hi:[1,0,0]
	v_mov_b32_e32 v96, v88
	v_mov_b32_e32 v97, v91
	v_pk_add_f32 v[100:101], v[96:97], v[94:95]
	v_pk_mul_f32 v[96:97], v[66:67], s[48:49] op_sel_hi:[1,0]
	v_mov_b32_e32 v229, v225
	;; [unrolled: 7-line block ×5, first 2 shown]
	v_pk_fma_f32 v[108:109], v[92:93], s[28:29], v[110:111] op_sel:[0,0,1] op_sel_hi:[1,0,0] neg_lo:[0,0,1] neg_hi:[0,0,1]
	v_pk_fma_f32 v[110:111], v[92:93], s[28:29], v[110:111] op_sel:[0,0,1] op_sel_hi:[1,0,0]
	v_mov_b32_e32 v116, v108
	v_mov_b32_e32 v117, v111
	v_pk_add_f32 v[114:115], v[116:117], v[114:115]
	ds_write2_b64 v182, v[112:113], v[114:115] offset0:2 offset1:3
	v_pk_mul_f32 v[114:115], v[54:55], s[34:35] op_sel_hi:[1,0]
	v_mov_b32_e32 v5, v3
	v_pk_fma_f32 v[112:113], v[52:53], s[14:15], v[114:115] op_sel:[0,0,1] op_sel_hi:[1,0,0] neg_lo:[0,0,1] neg_hi:[0,0,1]
	v_pk_fma_f32 v[114:115], v[52:53], s[14:15], v[114:115] op_sel:[0,0,1] op_sel_hi:[1,0,0]
	v_mov_b32_e32 v116, v112
	v_mov_b32_e32 v117, v115
	v_pk_add_f32 v[120:121], v[0:1], v[116:117]
	v_pk_fma_f32 v[116:117], v[48:49], s[38:39], v[118:119] op_sel:[0,0,1] op_sel_hi:[1,0,0] neg_lo:[0,0,1] neg_hi:[0,0,1]
	v_pk_fma_f32 v[118:119], v[48:49], s[38:39], v[118:119] op_sel:[0,0,1] op_sel_hi:[1,0,0]
	v_mov_b32_e32 v122, v116
	v_mov_b32_e32 v123, v119
	v_pk_add_f32 v[124:125], v[122:123], v[120:121]
	v_pk_mul_f32 v[122:123], v[58:59], s[50:51] op_sel_hi:[1,0]
	v_mov_b32_e32 v115, v113
	v_pk_fma_f32 v[120:121], v[56:57], s[20:21], v[122:123] op_sel:[0,0,1] op_sel_hi:[1,0,0] neg_lo:[0,0,1] neg_hi:[0,0,1]
	v_pk_fma_f32 v[122:123], v[56:57], s[20:21], v[122:123] op_sel:[0,0,1] op_sel_hi:[1,0,0]
	v_mov_b32_e32 v126, v120
	v_mov_b32_e32 v127, v123
	v_pk_add_f32 v[128:129], v[126:127], v[124:125]
	v_pk_mul_f32 v[126:127], v[62:63], s[46:47] op_sel_hi:[1,0]
	v_mov_b32_e32 v119, v117
	;; [unrolled: 7-line block ×7, first 2 shown]
	v_pk_fma_f32 v[146:147], v[52:53], s[20:21], v[144:145] op_sel:[0,0,1] op_sel_hi:[1,0,0] neg_lo:[0,0,1] neg_hi:[0,0,1]
	v_pk_fma_f32 v[144:145], v[52:53], s[20:21], v[144:145] op_sel:[0,0,1] op_sel_hi:[1,0,0]
	v_mov_b32_e32 v148, v146
	v_mov_b32_e32 v149, v145
	v_pk_add_f32 v[152:153], v[0:1], v[148:149]
	v_pk_mul_f32 v[148:149], v[50:51], s[52:53] op_sel_hi:[1,0]
	v_pk_mul_f32 v[50:51], v[50:51], s[46:47] op_sel_hi:[1,0]
	v_pk_fma_f32 v[150:151], v[48:49], s[28:29], v[148:149] op_sel:[0,0,1] op_sel_hi:[1,0,0] neg_lo:[0,0,1] neg_hi:[0,0,1]
	v_pk_fma_f32 v[148:149], v[48:49], s[28:29], v[148:149] op_sel:[0,0,1] op_sel_hi:[1,0,0]
	v_mov_b32_e32 v154, v150
	v_mov_b32_e32 v155, v149
	v_pk_add_f32 v[156:157], v[154:155], v[152:153]
	v_pk_mul_f32 v[154:155], v[58:59], s[48:49] op_sel_hi:[1,0]
	v_mov_b32_e32 v145, v147
	v_pk_fma_f32 v[152:153], v[56:57], s[4:5], v[154:155] op_sel:[0,0,1] op_sel_hi:[1,0,0] neg_lo:[0,0,1] neg_hi:[0,0,1]
	v_pk_fma_f32 v[154:155], v[56:57], s[4:5], v[154:155] op_sel:[0,0,1] op_sel_hi:[1,0,0]
	v_mov_b32_e32 v158, v152
	v_mov_b32_e32 v159, v155
	v_pk_add_f32 v[160:161], v[158:159], v[156:157]
	v_pk_mul_f32 v[158:159], v[62:63], s[42:43] op_sel_hi:[1,0]
	s_mov_b32 s42, 0x3f7ee86f
	v_pk_fma_f32 v[156:157], v[60:61], s[16:17], v[158:159] op_sel:[0,0,1] op_sel_hi:[1,0,0] neg_lo:[0,0,1] neg_hi:[0,0,1]
	v_pk_fma_f32 v[158:159], v[60:61], s[16:17], v[158:159] op_sel:[0,0,1] op_sel_hi:[1,0,0]
	v_mov_b32_e32 v162, v156
	v_mov_b32_e32 v163, v159
	v_pk_add_f32 v[164:165], v[162:163], v[160:161]
	v_pk_mul_f32 v[162:163], v[66:67], s[40:41] op_sel_hi:[1,0]
	v_mov_b32_e32 v149, v151
	v_pk_fma_f32 v[160:161], v[64:65], s[38:39], v[162:163] op_sel:[0,0,1] op_sel_hi:[1,0,0] neg_lo:[0,0,1] neg_hi:[0,0,1]
	v_pk_fma_f32 v[162:163], v[64:65], s[38:39], v[162:163] op_sel:[0,0,1] op_sel_hi:[1,0,0]
	v_mov_b32_e32 v166, v160
	v_mov_b32_e32 v167, v163
	v_pk_add_f32 v[168:169], v[166:167], v[164:165]
	v_pk_mul_f32 v[166:167], v[70:71], s[42:43] op_sel_hi:[1,0]
	v_mov_b32_e32 v155, v153
	;; [unrolled: 7-line block ×4, first 2 shown]
	v_pk_fma_f32 v[172:173], v[92:93], s[24:25], v[174:175] op_sel:[0,0,1] op_sel_hi:[1,0,0] neg_lo:[0,0,1] neg_hi:[0,0,1]
	v_pk_fma_f32 v[174:175], v[92:93], s[24:25], v[174:175] op_sel:[0,0,1] op_sel_hi:[1,0,0]
	v_mov_b32_e32 v188, v172
	v_mov_b32_e32 v189, v175
	v_pk_add_f32 v[186:187], v[188:189], v[186:187]
	ds_write2_b64 v182, v[184:185], v[186:187] offset0:4 offset1:5
	v_pk_mul_f32 v[184:185], v[54:55], s[26:27] op_sel_hi:[1,0]
	v_mov_b32_e32 v167, v165
	v_pk_fma_f32 v[186:187], v[52:53], s[24:25], v[184:185] op_sel:[0,0,1] op_sel_hi:[1,0,0] neg_lo:[0,0,1] neg_hi:[0,0,1]
	v_pk_fma_f32 v[184:185], v[52:53], s[24:25], v[184:185] op_sel:[0,0,1] op_sel_hi:[1,0,0]
	v_mov_b32_e32 v188, v186
	v_mov_b32_e32 v189, v185
	v_pk_add_f32 v[188:189], v[0:1], v[188:189]
	v_mov_b32_e32 v185, v187
	v_pk_add_f32 v[188:189], v[194:195], v[188:189]
	v_pk_mul_f32 v[194:195], v[58:59], s[18:19] op_sel_hi:[1,0]
	v_mov_b32_e32 v171, v169
	v_pk_fma_f32 v[196:197], v[56:57], s[12:13], v[194:195] op_sel:[0,0,1] op_sel_hi:[1,0,0] neg_lo:[0,0,1] neg_hi:[0,0,1]
	v_pk_fma_f32 v[194:195], v[56:57], s[12:13], v[194:195] op_sel:[0,0,1] op_sel_hi:[1,0,0]
	v_mov_b32_e32 v198, v196
	v_mov_b32_e32 v199, v195
	v_pk_add_f32 v[188:189], v[198:199], v[188:189]
	v_pk_mul_f32 v[198:199], v[62:63], s[30:31] op_sel_hi:[1,0]
	v_mov_b32_e32 v195, v197
	v_pk_fma_f32 v[200:201], v[60:61], s[28:29], v[198:199] op_sel:[0,0,1] op_sel_hi:[1,0,0] neg_lo:[0,0,1] neg_hi:[0,0,1]
	v_pk_fma_f32 v[198:199], v[60:61], s[28:29], v[198:199] op_sel:[0,0,1] op_sel_hi:[1,0,0]
	v_mov_b32_e32 v202, v200
	;; [unrolled: 7-line block ×6, first 2 shown]
	v_mov_b32_e32 v219, v215
	v_pk_add_f32 v[188:189], v[218:219], v[188:189]
	v_pk_mul_f32 v[218:219], v[54:55], s[30:31] op_sel_hi:[1,0]
	v_pk_mul_f32 v[54:55], v[54:55], s[40:41] op_sel_hi:[1,0]
	v_pk_fma_f32 v[220:221], v[52:53], s[28:29], v[218:219] op_sel:[0,0,1] op_sel_hi:[1,0,0] neg_lo:[0,0,1] neg_hi:[0,0,1]
	v_pk_fma_f32 v[218:219], v[52:53], s[28:29], v[218:219] op_sel:[0,0,1] op_sel_hi:[1,0,0]
	v_mov_b32_e32 v222, v220
	v_mov_b32_e32 v223, v219
	v_pk_add_f32 v[222:223], v[0:1], v[222:223]
	v_mov_b32_e32 v219, v221
	v_pk_add_f32 v[222:223], v[228:229], v[222:223]
	v_pk_mul_f32 v[228:229], v[58:59], s[34:35] op_sel_hi:[1,0]
	v_pk_mul_f32 v[58:59], v[58:59], s[30:31] op_sel_hi:[1,0]
	v_pk_fma_f32 v[230:231], v[56:57], s[14:15], v[228:229] op_sel:[0,0,1] op_sel_hi:[1,0,0] neg_lo:[0,0,1] neg_hi:[0,0,1]
	v_pk_fma_f32 v[228:229], v[56:57], s[14:15], v[228:229] op_sel:[0,0,1] op_sel_hi:[1,0,0]
	v_mov_b32_e32 v232, v230
	v_mov_b32_e32 v233, v229
	v_pk_add_f32 v[222:223], v[232:233], v[222:223]
	v_pk_mul_f32 v[232:233], v[62:63], s[54:55] op_sel_hi:[1,0]
	v_mov_b32_e32 v229, v231
	v_pk_fma_f32 v[234:235], v[60:61], s[24:25], v[232:233] op_sel:[0,0,1] op_sel_hi:[1,0,0] neg_lo:[0,0,1] neg_hi:[0,0,1]
	v_pk_fma_f32 v[232:233], v[60:61], s[24:25], v[232:233] op_sel:[0,0,1] op_sel_hi:[1,0,0]
	v_mov_b32_e32 v236, v234
	v_mov_b32_e32 v237, v233
	v_pk_add_f32 v[222:223], v[236:237], v[222:223]
	v_pk_mul_f32 v[236:237], v[66:67], s[18:19] op_sel_hi:[1,0]
	v_mov_b32_e32 v233, v235
	;; [unrolled: 7-line block ×5, first 2 shown]
	v_pk_fma_f32 v[250:251], v[92:93], s[20:21], v[248:249] op_sel:[0,0,1] op_sel_hi:[1,0,0] neg_lo:[0,0,1] neg_hi:[0,0,1]
	v_pk_fma_f32 v[248:249], v[92:93], s[20:21], v[248:249] op_sel:[0,0,1] op_sel_hi:[1,0,0]
	v_mov_b32_e32 v252, v250
	v_mov_b32_e32 v253, v249
	v_pk_add_f32 v[222:223], v[252:253], v[222:223]
	ds_write2_b64 v182, v[188:189], v[222:223] offset0:6 offset1:7
	v_pk_fma_f32 v[188:189], v[52:53], s[38:39], v[54:55] op_sel:[0,0,1] op_sel_hi:[1,0,0] neg_lo:[0,0,1] neg_hi:[0,0,1]
	v_pk_fma_f32 v[52:53], v[52:53], s[38:39], v[54:55] op_sel:[0,0,1] op_sel_hi:[1,0,0]
	v_pk_fma_f32 v[54:55], v[48:49], s[12:13], v[50:51] op_sel:[0,0,1] op_sel_hi:[1,0,0] neg_lo:[0,0,1] neg_hi:[0,0,1]
	v_pk_fma_f32 v[48:49], v[48:49], s[12:13], v[50:51] op_sel:[0,0,1] op_sel_hi:[1,0,0]
	v_mov_b32_e32 v50, v188
	v_mov_b32_e32 v51, v53
	v_pk_add_f32 v[50:51], v[0:1], v[50:51]
	v_mov_b32_e32 v222, v54
	v_mov_b32_e32 v223, v49
	v_pk_add_f32 v[50:51], v[222:223], v[50:51]
	v_pk_fma_f32 v[222:223], v[56:57], s[28:29], v[58:59] op_sel:[0,0,1] op_sel_hi:[1,0,0] neg_lo:[0,0,1] neg_hi:[0,0,1]
	v_pk_fma_f32 v[56:57], v[56:57], s[28:29], v[58:59] op_sel:[0,0,1] op_sel_hi:[1,0,0]
	v_mov_b32_e32 v58, v222
	v_mov_b32_e32 v59, v57
	v_pk_add_f32 v[50:51], v[58:59], v[50:51]
	v_pk_mul_f32 v[58:59], v[62:63], s[48:49] op_sel_hi:[1,0]
	v_mov_b32_e32 v53, v189
	v_pk_fma_f32 v[62:63], v[60:61], s[4:5], v[58:59] op_sel:[0,0,1] op_sel_hi:[1,0,0] neg_lo:[0,0,1] neg_hi:[0,0,1]
	v_pk_fma_f32 v[58:59], v[60:61], s[4:5], v[58:59] op_sel:[0,0,1] op_sel_hi:[1,0,0]
	v_mov_b32_e32 v60, v62
	v_mov_b32_e32 v61, v59
	v_pk_add_f32 v[50:51], v[60:61], v[50:51]
	v_pk_mul_f32 v[60:61], v[66:67], s[26:27] op_sel_hi:[1,0]
	v_mov_b32_e32 v49, v55
	v_pk_fma_f32 v[66:67], v[64:65], s[24:25], v[60:61] op_sel:[0,0,1] op_sel_hi:[1,0,0] neg_lo:[0,0,1] neg_hi:[0,0,1]
	v_pk_fma_f32 v[60:61], v[64:65], s[24:25], v[60:61] op_sel:[0,0,1] op_sel_hi:[1,0,0]
	v_mov_b32_e32 v64, v66
	v_mov_b32_e32 v65, v61
	v_pk_add_f32 v[50:51], v[64:65], v[50:51]
	v_pk_mul_f32 v[64:65], v[70:71], s[44:45] op_sel_hi:[1,0]
	v_pk_add_f32 v[52:53], v[0:1], v[52:53]
	v_pk_fma_f32 v[70:71], v[68:69], s[16:17], v[64:65] op_sel:[0,0,1] op_sel_hi:[1,0,0] neg_lo:[0,0,1] neg_hi:[0,0,1]
	v_pk_fma_f32 v[64:65], v[68:69], s[16:17], v[64:65] op_sel:[0,0,1] op_sel_hi:[1,0,0]
	v_mov_b32_e32 v68, v70
	v_mov_b32_e32 v69, v65
	v_pk_add_f32 v[50:51], v[68:69], v[50:51]
	v_pk_mul_f32 v[68:69], v[82:83], s[22:23] op_sel_hi:[1,0]
	v_pk_add_f32 v[48:49], v[48:49], v[52:53]
	v_mov_b32_e32 v57, v223
	v_pk_fma_f32 v[82:83], v[76:77], s[20:21], v[68:69] op_sel:[0,0,1] op_sel_hi:[1,0,0] neg_lo:[0,0,1] neg_hi:[0,0,1]
	v_pk_fma_f32 v[68:69], v[76:77], s[20:21], v[68:69] op_sel:[0,0,1] op_sel_hi:[1,0,0]
	v_pk_add_f32 v[48:49], v[56:57], v[48:49]
	v_mov_b32_e32 v59, v63
	v_mov_b32_e32 v76, v82
	;; [unrolled: 1-line block ×3, first 2 shown]
	v_pk_add_f32 v[48:49], v[58:59], v[48:49]
	v_mov_b32_e32 v61, v67
	v_pk_add_f32 v[50:51], v[76:77], v[50:51]
	v_pk_mul_f32 v[76:77], v[98:99], s[42:43] op_sel_hi:[1,0]
	v_pk_add_f32 v[48:49], v[60:61], v[48:49]
	v_mov_b32_e32 v65, v71
	v_pk_fma_f32 v[98:99], v[92:93], s[14:15], v[76:77] op_sel:[0,0,1] op_sel_hi:[1,0,0] neg_lo:[0,0,1] neg_hi:[0,0,1]
	v_pk_fma_f32 v[76:77], v[92:93], s[14:15], v[76:77] op_sel:[0,0,1] op_sel_hi:[1,0,0]
	v_pk_add_f32 v[48:49], v[64:65], v[48:49]
	v_mov_b32_e32 v69, v83
	v_mov_b32_e32 v92, v98
	;; [unrolled: 1-line block ×3, first 2 shown]
	v_pk_add_f32 v[48:49], v[68:69], v[48:49]
	v_mov_b32_e32 v77, v99
	v_pk_add_f32 v[50:51], v[92:93], v[50:51]
	v_pk_add_f32 v[48:49], v[76:77], v[48:49]
	ds_write2_b64 v182, v[50:51], v[48:49] offset0:8 offset1:9
	v_pk_add_f32 v[48:49], v[0:1], v[218:219]
	v_pk_add_f32 v[50:51], v[0:1], v[184:185]
	;; [unrolled: 1-line block ×13, first 2 shown]
	v_mov_b32_e32 v249, v251
	v_pk_add_f32 v[50:51], v[210:211], v[50:51]
	v_mov_b32_e32 v215, v217
	v_pk_add_f32 v[48:49], v[248:249], v[48:49]
	v_pk_add_f32 v[50:51], v[214:215], v[50:51]
	ds_write2_b64 v182, v[48:49], v[50:51] offset0:10 offset1:11
	v_pk_add_f32 v[48:49], v[0:1], v[144:145]
	v_pk_add_f32 v[50:51], v[0:1], v[114:115]
	;; [unrolled: 1-line block ×13, first 2 shown]
	v_mov_b32_e32 v175, v173
	v_pk_add_f32 v[50:51], v[138:139], v[50:51]
	v_mov_b32_e32 v143, v141
	v_pk_add_f32 v[48:49], v[174:175], v[48:49]
	v_pk_add_f32 v[50:51], v[142:143], v[50:51]
	ds_write2_b64 v182, v[48:49], v[50:51] offset0:12 offset1:13
	v_pk_add_f32 v[48:49], v[0:1], v[74:75]
	v_mov_b32_e32 v81, v79
	v_pk_add_f32 v[0:1], v[0:1], v[4:5]
	v_mov_b32_e32 v9, v7
	;; [unrolled: 2-line block ×14, first 2 shown]
	v_pk_add_f32 v[48:49], v[110:111], v[48:49]
	v_pk_add_f32 v[0:1], v[46:47], v[0:1]
	ds_write2_b64 v182, v[48:49], v[0:1] offset0:14 offset1:15
	ds_write_b64 v182, v[44:45] offset:128
.LBB0_21:
	s_or_b64 exec, exec, s[2:3]
	s_mov_b32 s2, 0xf0f1
	v_mul_u32_u24_sdwa v0, v38, s2 dst_sel:DWORD dst_unused:UNUSED_PAD src0_sel:WORD_0 src1_sel:DWORD
	v_lshrrev_b32_e32 v28, 20, v0
	v_mul_lo_u16_e32 v0, 17, v28
	v_sub_u16_e32 v0, v38, v0
	v_lshlrev_b32_e32 v29, 3, v0
	v_mul_u32_u24_sdwa v0, v40, s2 dst_sel:DWORD dst_unused:UNUSED_PAD src0_sel:WORD_0 src1_sel:DWORD
	v_lshrrev_b32_e32 v58, 20, v0
	v_mul_lo_u16_e32 v0, 17, v58
	v_sub_u16_e32 v0, v40, v0
	v_lshlrev_b32_e32 v59, 3, v0
	v_add_u32_e32 v49, 0xff, v36
	s_waitcnt lgkmcnt(0)
	; wave barrier
	s_waitcnt lgkmcnt(0)
	global_load_dwordx2 v[12:13], v59, s[8:9]
	global_load_dwordx2 v[14:15], v29, s[8:9]
	v_mul_u32_u24_sdwa v0, v49, s2 dst_sel:DWORD dst_unused:UNUSED_PAD src0_sel:WORD_0 src1_sel:DWORD
	v_lshrrev_b32_e32 v60, 20, v0
	s_movk_i32 s2, 0xf1
	v_add_u16_e32 v48, 0xcc, v36
	v_mul_lo_u16_e32 v0, 17, v60
	v_mul_lo_u16_sdwa v51, v48, s2 dst_sel:DWORD dst_unused:UNUSED_PAD src0_sel:BYTE_0 src1_sel:DWORD
	v_sub_u16_e32 v0, v49, v0
	v_lshrrev_b16_e32 v62, 12, v51
	v_add_u16_e32 v52, 0x99, v36
	v_lshlrev_b32_e32 v61, 3, v0
	v_mul_lo_u16_e32 v0, 17, v62
	v_mul_lo_u16_sdwa v54, v52, s2 dst_sel:DWORD dst_unused:UNUSED_PAD src0_sel:BYTE_0 src1_sel:DWORD
	v_sub_u16_e32 v0, v48, v0
	v_mov_b32_e32 v50, 3
	v_add_u16_e32 v53, 0x66, v36
	v_lshrrev_b16_e32 v64, 12, v54
	global_load_dwordx2 v[16:17], v61, s[8:9]
	v_lshlrev_b32_sdwa v63, v50, v0 dst_sel:DWORD dst_unused:UNUSED_PAD src0_sel:DWORD src1_sel:BYTE_0
	global_load_dwordx2 v[18:19], v63, s[8:9]
	v_mul_lo_u16_e32 v0, 17, v64
	v_mul_lo_u16_sdwa v55, v53, s2 dst_sel:DWORD dst_unused:UNUSED_PAD src0_sel:BYTE_0 src1_sel:DWORD
	v_sub_u16_e32 v0, v52, v0
	v_lshrrev_b16_e32 v66, 12, v55
	v_add_u16_e32 v56, 51, v36
	v_lshlrev_b32_sdwa v65, v50, v0 dst_sel:DWORD dst_unused:UNUSED_PAD src0_sel:DWORD src1_sel:BYTE_0
	global_load_dwordx2 v[20:21], v65, s[8:9]
	v_mul_lo_u16_e32 v0, 17, v66
	v_mul_lo_u16_sdwa v57, v56, s2 dst_sel:DWORD dst_unused:UNUSED_PAD src0_sel:BYTE_0 src1_sel:DWORD
	v_sub_u16_e32 v0, v53, v0
	v_lshrrev_b16_e32 v68, 12, v57
	v_lshlrev_b32_sdwa v67, v50, v0 dst_sel:DWORD dst_unused:UNUSED_PAD src0_sel:DWORD src1_sel:BYTE_0
	global_load_dwordx2 v[22:23], v67, s[8:9]
	v_mul_lo_u16_e32 v0, 17, v68
	v_sub_u16_e32 v0, v56, v0
	v_lshlrev_b32_sdwa v69, v50, v0 dst_sel:DWORD dst_unused:UNUSED_PAD src0_sel:DWORD src1_sel:BYTE_0
	v_mul_lo_u16_sdwa v0, v36, s2 dst_sel:DWORD dst_unused:UNUSED_PAD src0_sel:BYTE_0 src1_sel:DWORD
	v_lshrrev_b16_e32 v70, 12, v0
	v_mul_lo_u16_e32 v0, 17, v70
	v_sub_u16_e32 v0, v36, v0
	global_load_dwordx2 v[24:25], v69, s[8:9]
	v_lshlrev_b32_sdwa v71, v50, v0 dst_sel:DWORD dst_unused:UNUSED_PAD src0_sel:DWORD src1_sel:BYTE_0
	global_load_dwordx2 v[26:27], v71, s[8:9]
	ds_read2_b64 v[0:3], v180 offset0:152 offset1:203
	ds_read2_b64 v[4:7], v181 offset0:126 offset1:177
	;; [unrolled: 1-line block ×3, first 2 shown]
	s_mov_b32 s3, 0x5040100
	s_movk_i32 s2, 0x110
	v_perm_b32 v28, v58, v28, s3
	v_pk_mul_lo_u16 v28, v28, s2 op_sel_hi:[1,0]
	v_mul_u32_u24_e32 v70, 0x110, v70
	v_mul_u32_u24_e32 v68, 0x110, v68
	v_and_b32_e32 v58, 0xfff0, v28
	v_lshrrev_b32_e32 v28, 16, v28
	v_mul_u32_u24_e32 v66, 0x110, v66
	v_mul_u32_u24_e32 v60, 0x110, v60
	v_add3_u32 v70, 0, v70, v71
	v_add3_u32 v68, 0, v68, v69
	;; [unrolled: 1-line block ×6, first 2 shown]
	ds_read_b64 v[30:31], v178
	ds_read_b64 v[46:47], v177
	v_mul_u32_u24_e32 v64, 0x110, v64
	v_mul_u32_u24_e32 v62, 0x110, v62
	v_add3_u32 v64, 0, v64, v65
	v_add3_u32 v65, 0, v62, v63
	v_cmp_gt_u32_e32 vcc, 17, v36
	s_waitcnt vmcnt(7) lgkmcnt(2)
	v_pk_mul_f32 v[28:29], v[10:11], v[12:13] op_sel:[0,1]
	s_waitcnt vmcnt(6)
	v_pk_mul_f32 v[58:59], v[8:9], v[14:15] op_sel:[0,1]
	v_pk_fma_f32 v[60:61], v[10:11], v[12:13], v[28:29] op_sel:[0,0,1] op_sel_hi:[1,1,0] neg_lo:[0,0,1] neg_hi:[0,0,1]
	v_pk_fma_f32 v[10:11], v[10:11], v[12:13], v[28:29] op_sel:[0,0,1] op_sel_hi:[1,0,0]
	v_pk_fma_f32 v[12:13], v[8:9], v[14:15], v[58:59] op_sel:[0,0,1] op_sel_hi:[1,1,0] neg_lo:[0,0,1] neg_hi:[0,0,1]
	v_mov_b32_e32 v61, v11
	v_pk_fma_f32 v[14:15], v[8:9], v[14:15], v[58:59] op_sel:[0,0,1] op_sel_hi:[1,0,0]
	ds_read2_b64 v[8:11], v179 offset0:100 offset1:151
	v_mov_b32_e32 v13, v15
	s_waitcnt lgkmcnt(2)
	v_pk_add_f32 v[28:29], v[30:31], v[60:61] neg_lo:[0,1] neg_hi:[0,1]
	s_waitcnt lgkmcnt(1)
	v_pk_add_f32 v[58:59], v[46:47], v[12:13] neg_lo:[0,1] neg_hi:[0,1]
	ds_read2_b64 v[12:15], v176 offset0:204 offset1:255
	v_pk_fma_f32 v[30:31], v[30:31], 2.0, v[28:29] op_sel_hi:[1,0,1] neg_lo:[0,0,1] neg_hi:[0,0,1]
	v_pk_fma_f32 v[46:47], v[46:47], 2.0, v[58:59] op_sel_hi:[1,0,1] neg_lo:[0,0,1] neg_hi:[0,0,1]
	s_waitcnt vmcnt(5) lgkmcnt(1)
	v_pk_mul_f32 v[60:61], v[10:11], v[16:17] op_sel:[0,1]
	s_nop 0
	v_pk_fma_f32 v[62:63], v[10:11], v[16:17], v[60:61] op_sel:[0,0,1] op_sel_hi:[1,1,0] neg_lo:[0,0,1] neg_hi:[0,0,1]
	v_pk_fma_f32 v[10:11], v[10:11], v[16:17], v[60:61] op_sel:[0,0,1] op_sel_hi:[1,0,0]
	s_nop 0
	v_mov_b32_e32 v63, v11
	s_waitcnt vmcnt(4)
	v_pk_mul_f32 v[10:11], v[8:9], v[18:19] op_sel:[0,1]
	s_waitcnt lgkmcnt(0)
	v_pk_add_f32 v[16:17], v[14:15], v[62:63] neg_lo:[0,1] neg_hi:[0,1]
	v_pk_fma_f32 v[60:61], v[8:9], v[18:19], v[10:11] op_sel:[0,0,1] op_sel_hi:[1,1,0] neg_lo:[0,0,1] neg_hi:[0,0,1]
	v_pk_fma_f32 v[8:9], v[8:9], v[18:19], v[10:11] op_sel:[0,0,1] op_sel_hi:[1,0,0]
	v_pk_fma_f32 v[14:15], v[14:15], 2.0, v[16:17] op_sel_hi:[1,0,1] neg_lo:[0,0,1] neg_hi:[0,0,1]
	v_mov_b32_e32 v61, v9
	v_pk_add_f32 v[18:19], v[12:13], v[60:61] neg_lo:[0,1] neg_hi:[0,1]
	ds_read2_b64 v[8:11], v176 offset0:102 offset1:153
	s_waitcnt vmcnt(3)
	v_pk_mul_f32 v[60:61], v[20:21], v[6:7] op_sel:[0,1]
	v_pk_fma_f32 v[12:13], v[12:13], 2.0, v[18:19] op_sel_hi:[1,0,1] neg_lo:[0,0,1] neg_hi:[0,0,1]
	v_pk_fma_f32 v[62:63], v[20:21], v[6:7], v[60:61] op_sel:[0,0,1] op_sel_hi:[1,1,0] neg_lo:[0,0,1] neg_hi:[0,0,1]
	v_pk_fma_f32 v[6:7], v[20:21], v[6:7], v[60:61] op_sel:[0,0,1] op_sel_hi:[1,0,0]
	s_nop 0
	v_mov_b32_e32 v63, v7
	s_waitcnt vmcnt(2)
	v_pk_mul_f32 v[6:7], v[22:23], v[4:5] op_sel:[0,1]
	s_waitcnt lgkmcnt(0)
	v_pk_add_f32 v[20:21], v[10:11], v[62:63] neg_lo:[0,1] neg_hi:[0,1]
	v_pk_fma_f32 v[60:61], v[22:23], v[4:5], v[6:7] op_sel:[0,0,1] op_sel_hi:[1,1,0] neg_lo:[0,0,1] neg_hi:[0,0,1]
	v_pk_fma_f32 v[4:5], v[22:23], v[4:5], v[6:7] op_sel:[0,0,1] op_sel_hi:[1,0,0]
	v_pk_fma_f32 v[10:11], v[10:11], 2.0, v[20:21] op_sel_hi:[1,0,1] neg_lo:[0,0,1] neg_hi:[0,0,1]
	v_mov_b32_e32 v61, v5
	ds_read2_b64 v[4:7], v176 offset1:51
	v_pk_add_f32 v[22:23], v[8:9], v[60:61] neg_lo:[0,1] neg_hi:[0,1]
	s_waitcnt vmcnt(1)
	v_pk_mul_f32 v[60:61], v[24:25], v[2:3] op_sel:[0,1]
	v_pk_fma_f32 v[8:9], v[8:9], 2.0, v[22:23] op_sel_hi:[1,0,1] neg_lo:[0,0,1] neg_hi:[0,0,1]
	v_pk_fma_f32 v[62:63], v[24:25], v[2:3], v[60:61] op_sel:[0,0,1] op_sel_hi:[1,1,0] neg_lo:[0,0,1] neg_hi:[0,0,1]
	v_pk_fma_f32 v[2:3], v[24:25], v[2:3], v[60:61] op_sel:[0,0,1] op_sel_hi:[1,0,0]
	s_waitcnt vmcnt(0)
	v_pk_mul_f32 v[24:25], v[26:27], v[0:1] op_sel:[0,1]
	v_mov_b32_e32 v63, v3
	v_pk_fma_f32 v[60:61], v[26:27], v[0:1], v[24:25] op_sel:[0,0,1] op_sel_hi:[1,1,0] neg_lo:[0,0,1] neg_hi:[0,0,1]
	v_pk_fma_f32 v[0:1], v[26:27], v[0:1], v[24:25] op_sel:[0,0,1] op_sel_hi:[1,0,0]
	s_waitcnt lgkmcnt(0)
	v_pk_add_f32 v[2:3], v[6:7], v[62:63] neg_lo:[0,1] neg_hi:[0,1]
	v_mov_b32_e32 v61, v1
	v_pk_add_f32 v[0:1], v[4:5], v[60:61] neg_lo:[0,1] neg_hi:[0,1]
	v_pk_fma_f32 v[6:7], v[6:7], 2.0, v[2:3] op_sel_hi:[1,0,1] neg_lo:[0,0,1] neg_hi:[0,0,1]
	v_pk_fma_f32 v[4:5], v[4:5], 2.0, v[0:1] op_sel_hi:[1,0,1] neg_lo:[0,0,1] neg_hi:[0,0,1]
	s_waitcnt lgkmcnt(0)
	; wave barrier
	ds_write2_b64 v70, v[4:5], v[0:1] offset1:17
	ds_write2_b64 v68, v[6:7], v[2:3] offset1:17
	;; [unrolled: 1-line block ×8, first 2 shown]
	v_add_u32_e32 v0, 0x400, v176
	s_waitcnt lgkmcnt(0)
	; wave barrier
	s_waitcnt lgkmcnt(0)
	ds_read2_b64 v[12:15], v176 offset1:51
	ds_read2_b64 v[0:3], v0 offset0:76 offset1:144
	ds_read2_b64 v[16:19], v179 offset0:32 offset1:83
	;; [unrolled: 1-line block ×6, first 2 shown]
	ds_read_b64 v[46:47], v176 offset:5984
                                        ; implicit-def: $vgpr30
	s_and_saveexec_b64 s[2:3], vcc
	s_cbranch_execz .LBB0_23
; %bb.22:
	ds_read_b64 v[28:29], v176 offset:2040
	ds_read_b64 v[44:45], v176 offset:4216
	;; [unrolled: 1-line block ×3, first 2 shown]
.LBB0_23:
	s_or_b64 exec, exec, s[2:3]
	v_lshrrev_b16_e32 v72, 13, v55
	v_subrev_u32_e32 v58, 34, v36
	v_cmp_gt_u32_e64 s[2:3], 34, v36
	v_lshrrev_b16_e32 v69, 13, v57
	v_mul_lo_u16_e32 v55, 34, v72
	v_lshrrev_b16_e32 v74, 13, v54
	v_cndmask_b32_e64 v68, v58, v36, s[2:3]
	v_mul_lo_u16_e32 v57, 34, v69
	v_sub_u16_e32 v73, v53, v55
	v_mul_lo_u16_e32 v53, 34, v74
	v_lshlrev_b32_e32 v64, 1, v68
	v_mov_b32_e32 v65, 0
	v_sub_u16_e32 v70, v56, v57
	v_mov_b32_e32 v71, 4
	v_sub_u16_e32 v75, v52, v53
	v_lshlrev_b32_sdwa v52, v71, v75 dst_sel:DWORD dst_unused:UNUSED_PAD src0_sel:DWORD src1_sel:BYTE_0
	v_lshlrev_b32_sdwa v56, v71, v73 dst_sel:DWORD dst_unused:UNUSED_PAD src0_sel:DWORD src1_sel:BYTE_0
	;; [unrolled: 1-line block ×3, first 2 shown]
	v_lshl_add_u64 v[64:65], v[64:65], 3, s[8:9]
	global_load_dwordx4 v[52:55], v52, s[8:9] offset:136
	v_lshrrev_b16_e32 v51, 13, v51
	global_load_dwordx4 v[56:59], v56, s[8:9] offset:136
	v_mul_lo_u16_e32 v77, 34, v51
	global_load_dwordx4 v[60:63], v60, s[8:9] offset:136
	v_mov_b32_e32 v76, 0x330
	global_load_dwordx4 v[64:67], v[64:65], off offset:136
	v_cmp_lt_u32_e64 s[2:3], 33, v36
	v_sub_u16_e32 v90, v48, v77
	v_mul_u32_u24_e32 v78, 0x330, v69
	v_cndmask_b32_e64 v76, 0, v76, s[2:3]
	v_lshlrev_b32_e32 v68, 3, v68
	v_lshlrev_b32_sdwa v69, v71, v90 dst_sel:DWORD dst_unused:UNUSED_PAD src0_sel:DWORD src1_sel:BYTE_0
	v_add3_u32 v91, 0, v76, v68
	v_lshlrev_b32_sdwa v76, v50, v70 dst_sel:DWORD dst_unused:UNUSED_PAD src0_sel:DWORD src1_sel:BYTE_0
	global_load_dwordx4 v[68:71], v69, s[8:9] offset:136
	v_mul_u32_u24_e32 v72, 0x330, v72
	v_mul_u32_u24_e32 v74, 0x330, v74
	v_lshlrev_b32_sdwa v73, v50, v73 dst_sel:DWORD dst_unused:UNUSED_PAD src0_sel:DWORD src1_sel:BYTE_0
	v_lshlrev_b32_sdwa v75, v50, v75 dst_sel:DWORD dst_unused:UNUSED_PAD src0_sel:DWORD src1_sel:BYTE_0
	v_add3_u32 v92, 0, v78, v76
	v_add3_u32 v93, 0, v72, v73
	;; [unrolled: 1-line block ×3, first 2 shown]
	s_mov_b32 s4, 0x3f5db3d7
	s_waitcnt lgkmcnt(0)
	; wave barrier
	s_waitcnt vmcnt(4) lgkmcnt(0)
	v_pk_mul_f32 v[72:73], v[52:53], v[4:5] op_sel:[0,1]
	v_mov_b32_e32 v74, v55
	s_waitcnt vmcnt(3)
	v_pk_mul_f32 v[76:77], v[56:57], v[26:27] op_sel:[0,1]
	v_pk_mul_f32 v[78:79], v[58:59], v[20:21] op_sel:[0,1]
	s_waitcnt vmcnt(2)
	v_pk_mul_f32 v[80:81], v[60:61], v[24:25] op_sel:[0,1]
	v_pk_mul_f32 v[82:83], v[62:63], v[18:19] op_sel:[0,1]
	;; [unrolled: 3-line block ×3, first 2 shown]
	v_pk_fma_f32 v[88:89], v[52:53], v[4:5], v[72:73] op_sel:[0,0,1] op_sel_hi:[1,1,0] neg_lo:[0,0,1] neg_hi:[0,0,1]
	v_pk_fma_f32 v[4:5], v[52:53], v[4:5], v[72:73] op_sel:[0,0,1] op_sel_hi:[1,0,0]
	v_pk_mul_f32 v[52:53], v[22:23], v[74:75] op_sel_hi:[1,0]
	v_pk_fma_f32 v[72:73], v[56:57], v[26:27], v[76:77] op_sel:[0,0,1] op_sel_hi:[1,1,0] neg_lo:[0,0,1] neg_hi:[0,0,1]
	v_pk_fma_f32 v[26:27], v[56:57], v[26:27], v[76:77] op_sel:[0,0,1] op_sel_hi:[1,0,0]
	v_pk_fma_f32 v[56:57], v[58:59], v[20:21], v[78:79] op_sel:[0,0,1] op_sel_hi:[1,1,0] neg_lo:[0,0,1] neg_hi:[0,0,1]
	v_pk_fma_f32 v[20:21], v[58:59], v[20:21], v[78:79] op_sel:[0,0,1] op_sel_hi:[1,0,0]
	v_pk_fma_f32 v[58:59], v[60:61], v[24:25], v[80:81] op_sel:[0,0,1] op_sel_hi:[1,1,0] neg_lo:[0,0,1] neg_hi:[0,0,1]
	v_pk_fma_f32 v[24:25], v[60:61], v[24:25], v[80:81] op_sel:[0,0,1] op_sel_hi:[1,0,0]
	v_pk_fma_f32 v[60:61], v[62:63], v[18:19], v[82:83] op_sel:[0,0,1] op_sel_hi:[1,1,0] neg_lo:[0,0,1] neg_hi:[0,0,1]
	v_pk_fma_f32 v[18:19], v[62:63], v[18:19], v[82:83] op_sel:[0,0,1] op_sel_hi:[1,0,0]
	v_pk_fma_f32 v[62:63], v[64:65], v[2:3], v[84:85] op_sel:[0,0,1] op_sel_hi:[1,1,0] neg_lo:[0,0,1] neg_hi:[0,0,1]
	v_pk_fma_f32 v[2:3], v[64:65], v[2:3], v[84:85] op_sel:[0,0,1] op_sel_hi:[1,0,0]
	v_pk_fma_f32 v[64:65], v[66:67], v[16:17], v[86:87] op_sel:[0,0,1] op_sel_hi:[1,1,0] neg_lo:[0,0,1] neg_hi:[0,0,1]
	v_pk_fma_f32 v[16:17], v[66:67], v[16:17], v[86:87] op_sel:[0,0,1] op_sel_hi:[1,0,0]
	v_mov_b32_e32 v89, v5
	v_pk_fma_f32 v[4:5], v[22:23], v[54:55], v[52:53] op_sel:[0,0,1] op_sel_hi:[1,1,0] neg_lo:[0,0,1] neg_hi:[0,0,1]
	v_pk_fma_f32 v[22:23], v[22:23], v[54:55], v[52:53] op_sel:[0,0,1] op_sel_hi:[1,0,0]
	v_mov_b32_e32 v63, v3
	v_mov_b32_e32 v65, v17
	;; [unrolled: 1-line block ×4, first 2 shown]
	v_pk_add_f32 v[22:23], v[62:63], v[64:65]
	v_pk_add_f32 v[24:25], v[62:63], v[64:65] neg_lo:[0,1] neg_hi:[0,1]
	v_mov_b32_e32 v57, v21
	v_pk_add_f32 v[20:21], v[12:13], v[62:63]
	v_pk_fma_f32 v[12:13], v[22:23], 0.5, v[12:13] op_sel_hi:[1,0,1] neg_lo:[1,0,0] neg_hi:[1,0,0]
	v_pk_mul_f32 v[22:23], v[24:25], s[4:5] op_sel_hi:[1,0]
	v_mov_b32_e32 v61, v19
	v_pk_add_f32 v[24:25], v[12:13], v[22:23] op_sel:[0,1] op_sel_hi:[1,0]
	v_pk_add_f32 v[12:13], v[12:13], v[22:23] op_sel:[0,1] op_sel_hi:[1,0] neg_lo:[0,1] neg_hi:[0,1]
	v_pk_add_f32 v[18:19], v[14:15], v[58:59]
	v_mov_b32_e32 v23, v13
	v_mov_b32_e32 v13, v25
	ds_write_b64 v91, v[12:13] offset:544
	v_pk_add_f32 v[12:13], v[58:59], v[60:61]
	v_pk_add_f32 v[20:21], v[20:21], v[64:65]
	v_pk_fma_f32 v[12:13], v[12:13], 0.5, v[14:15] op_sel_hi:[1,0,1] neg_lo:[1,0,0] neg_hi:[1,0,0]
	v_pk_add_f32 v[14:15], v[58:59], v[60:61] neg_lo:[0,1] neg_hi:[0,1]
	v_mov_b32_e32 v22, v24
	v_pk_mul_f32 v[14:15], v[14:15], s[4:5] op_sel_hi:[1,0]
	ds_write2_b64 v91, v[20:21], v[22:23] offset1:34
	v_pk_add_f32 v[20:21], v[12:13], v[14:15] op_sel:[0,1] op_sel_hi:[1,0]
	v_pk_add_f32 v[12:13], v[12:13], v[14:15] op_sel:[0,1] op_sel_hi:[1,0] neg_lo:[0,1] neg_hi:[0,1]
	v_mov_b32_e32 v73, v27
	v_mov_b32_e32 v15, v13
	v_mov_b32_e32 v13, v21
	ds_write_b64 v92, v[12:13] offset:544
	v_pk_add_f32 v[12:13], v[72:73], v[56:57]
	v_pk_add_f32 v[16:17], v[8:9], v[72:73]
	v_pk_fma_f32 v[8:9], v[12:13], 0.5, v[8:9] op_sel_hi:[1,0,1] neg_lo:[1,0,0] neg_hi:[1,0,0]
	v_pk_add_f32 v[12:13], v[72:73], v[56:57] neg_lo:[0,1] neg_hi:[0,1]
	v_pk_add_f32 v[18:19], v[18:19], v[60:61]
	v_mov_b32_e32 v14, v20
	v_pk_mul_f32 v[12:13], v[12:13], s[4:5] op_sel_hi:[1,0]
	ds_write2_b64 v92, v[18:19], v[14:15] offset1:34
	v_pk_add_f32 v[14:15], v[8:9], v[12:13] op_sel:[0,1] op_sel_hi:[1,0]
	v_pk_add_f32 v[8:9], v[8:9], v[12:13] op_sel:[0,1] op_sel_hi:[1,0] neg_lo:[0,1] neg_hi:[0,1]
	v_pk_add_f32 v[2:3], v[10:11], v[88:89]
	v_mov_b32_e32 v13, v9
	v_mov_b32_e32 v9, v15
	v_pk_add_f32 v[2:3], v[2:3], v[4:5]
	ds_write_b64 v93, v[8:9] offset:544
	v_pk_add_f32 v[8:9], v[88:89], v[4:5]
	v_pk_add_f32 v[4:5], v[88:89], v[4:5] neg_lo:[0,1] neg_hi:[0,1]
	v_pk_fma_f32 v[8:9], v[8:9], 0.5, v[10:11] op_sel_hi:[1,0,1] neg_lo:[1,0,0] neg_hi:[1,0,0]
	v_pk_mul_f32 v[4:5], v[4:5], s[4:5] op_sel_hi:[1,0]
	v_pk_add_f32 v[16:17], v[16:17], v[56:57]
	v_pk_add_f32 v[10:11], v[8:9], v[4:5] op_sel:[0,1] op_sel_hi:[1,0]
	v_pk_add_f32 v[4:5], v[8:9], v[4:5] op_sel:[0,1] op_sel_hi:[1,0] neg_lo:[0,1] neg_hi:[0,1]
	v_mov_b32_e32 v12, v14
	v_mov_b32_e32 v8, v10
	;; [unrolled: 1-line block ×3, first 2 shown]
	ds_write2_b64 v93, v[16:17], v[12:13] offset1:34
	ds_write2_b64 v75, v[2:3], v[8:9] offset1:34
	v_mul_u32_u24_e32 v2, 0x330, v51
	v_lshlrev_b32_sdwa v3, v50, v90 dst_sel:DWORD dst_unused:UNUSED_PAD src0_sel:DWORD src1_sel:BYTE_0
	v_mov_b32_e32 v5, v11
	v_add3_u32 v10, 0, v2, v3
	s_waitcnt vmcnt(0)
	v_pk_mul_f32 v[2:3], v[6:7], v[68:69] op_sel:[0,1]
	ds_write_b64 v75, v[4:5] offset:544
	v_pk_fma_f32 v[4:5], v[6:7], v[68:69], v[2:3] op_sel:[0,0,1] op_sel_hi:[1,1,0] neg_lo:[0,0,1] neg_hi:[0,0,1]
	v_pk_fma_f32 v[2:3], v[6:7], v[68:69], v[2:3] op_sel:[0,0,1] op_sel_hi:[1,0,0]
	s_nop 0
	v_mov_b32_e32 v2, v71
	v_mov_b32_e32 v5, v3
	v_pk_mul_f32 v[2:3], v[46:47], v[2:3] op_sel_hi:[1,0]
	s_nop 0
	v_pk_fma_f32 v[6:7], v[46:47], v[70:71], v[2:3] op_sel:[0,0,1] op_sel_hi:[1,1,0] neg_lo:[0,0,1] neg_hi:[0,0,1]
	v_pk_fma_f32 v[2:3], v[46:47], v[70:71], v[2:3] op_sel:[0,0,1] op_sel_hi:[1,0,0]
	s_nop 0
	v_mov_b32_e32 v7, v3
	v_pk_add_f32 v[2:3], v[0:1], v[4:5]
	v_pk_add_f32 v[8:9], v[4:5], v[6:7]
	v_pk_add_f32 v[4:5], v[4:5], v[6:7] neg_lo:[0,1] neg_hi:[0,1]
	v_pk_fma_f32 v[0:1], v[8:9], 0.5, v[0:1] op_sel_hi:[1,0,1] neg_lo:[1,0,0] neg_hi:[1,0,0]
	v_pk_mul_f32 v[4:5], v[4:5], s[4:5] op_sel_hi:[1,0]
	v_pk_add_f32 v[2:3], v[2:3], v[6:7]
	v_pk_add_f32 v[6:7], v[0:1], v[4:5] op_sel:[0,1] op_sel_hi:[1,0]
	v_pk_add_f32 v[0:1], v[0:1], v[4:5] op_sel:[0,1] op_sel_hi:[1,0] neg_lo:[0,1] neg_hi:[0,1]
	v_mov_b32_e32 v4, v6
	v_mov_b32_e32 v5, v1
	;; [unrolled: 1-line block ×3, first 2 shown]
	ds_write2_b64 v10, v[2:3], v[4:5] offset1:34
	ds_write_b64 v10, v[0:1] offset:544
	s_and_saveexec_b64 s[2:3], vcc
	s_cbranch_execz .LBB0_25
; %bb.24:
	s_mov_b32 s5, 0xf0f1
	v_mul_u32_u24_sdwa v0, v49, s5 dst_sel:DWORD dst_unused:UNUSED_PAD src0_sel:WORD_0 src1_sel:DWORD
	v_lshrrev_b32_e32 v0, 21, v0
	v_mul_lo_u16_e32 v0, 34, v0
	v_sub_u16_e32 v5, v49, v0
	v_lshlrev_b32_e32 v0, 4, v5
	global_load_dwordx4 v[0:3], v0, s[8:9] offset:136
	v_mov_b32_e32 v4, v31
	v_lshl_add_u32 v10, v5, 3, 0
	v_add_u32_e32 v11, 0x1000, v10
	s_waitcnt vmcnt(0)
	v_pk_mul_f32 v[6:7], v[44:45], v[0:1] op_sel:[1,0]
	v_pk_mul_f32 v[4:5], v[4:5], v[2:3] op_sel_hi:[0,1]
	v_pk_fma_f32 v[8:9], v[44:45], v[0:1], v[6:7] op_sel:[0,0,1] op_sel_hi:[1,1,0] neg_lo:[0,0,1] neg_hi:[0,0,1]
	v_pk_fma_f32 v[0:1], v[44:45], v[0:1], v[6:7] op_sel:[0,0,1] op_sel_hi:[0,1,0]
	v_pk_fma_f32 v[6:7], v[30:31], v[2:3], v[4:5] op_sel:[0,0,1] op_sel_hi:[1,1,0] neg_lo:[0,0,1] neg_hi:[0,0,1]
	v_pk_fma_f32 v[2:3], v[30:31], v[2:3], v[4:5] op_sel:[0,0,1] op_sel_hi:[0,1,0]
	v_mov_b32_e32 v9, v1
	v_mov_b32_e32 v7, v3
	v_pk_add_f32 v[2:3], v[8:9], v[6:7]
	v_pk_add_f32 v[4:5], v[8:9], v[6:7] neg_lo:[0,1] neg_hi:[0,1]
	v_pk_add_f32 v[0:1], v[28:29], v[8:9]
	v_pk_fma_f32 v[2:3], -0.5, v[2:3], v[28:29] op_sel_hi:[0,1,1]
	v_pk_mul_f32 v[4:5], v[4:5], s[4:5] op_sel_hi:[1,0]
	v_pk_add_f32 v[0:1], v[0:1], v[6:7]
	v_pk_add_f32 v[6:7], v[2:3], v[4:5] op_sel:[0,1] op_sel_hi:[1,0]
	v_pk_add_f32 v[2:3], v[2:3], v[4:5] op_sel:[0,1] op_sel_hi:[1,0] neg_lo:[0,1] neg_hi:[0,1]
	v_mov_b32_e32 v4, v6
	v_mov_b32_e32 v5, v3
	;; [unrolled: 1-line block ×3, first 2 shown]
	ds_write2_b64 v11, v[0:1], v[4:5] offset0:202 offset1:236
	ds_write_b64 v10, v[2:3] offset:6256
.LBB0_25:
	s_or_b64 exec, exec, s[2:3]
	s_mov_b32 s2, 0xa0a1
	v_mul_u32_u24_sdwa v4, v49, s2 dst_sel:DWORD dst_unused:UNUSED_PAD src0_sel:WORD_0 src1_sel:DWORD
	v_lshrrev_b32_e32 v4, 22, v4
	v_mul_lo_u16_e32 v4, 0x66, v4
	v_sub_u16_e32 v4, v49, v4
	v_lshl_add_u64 v[2:3], v[36:37], 3, s[8:9]
	v_lshlrev_b32_e32 v37, 3, v4
	v_mul_u32_u24_sdwa v4, v38, s2 dst_sel:DWORD dst_unused:UNUSED_PAD src0_sel:WORD_0 src1_sel:DWORD
	v_lshrrev_b32_e32 v4, 22, v4
	v_mul_lo_u16_e32 v4, 0x66, v4
	v_sub_u16_e32 v4, v38, v4
	v_lshl_add_u64 v[0:1], v[42:43], 3, s[8:9]
	v_lshlrev_b32_e32 v58, 3, v4
	v_mul_u32_u24_sdwa v4, v40, s2 dst_sel:DWORD dst_unused:UNUSED_PAD src0_sel:WORD_0 src1_sel:DWORD
	s_waitcnt lgkmcnt(0)
	; wave barrier
	s_waitcnt lgkmcnt(0)
	global_load_dwordx2 v[42:43], v[0:1], off offset:680
	global_load_dwordx2 v[46:47], v[2:3], off offset:1088
	v_lshrrev_b32_e32 v4, 22, v4
	s_movk_i32 s2, 0xa1
	v_mul_lo_u16_e32 v4, 0x66, v4
	v_mul_lo_u16_sdwa v5, v48, s2 dst_sel:DWORD dst_unused:UNUSED_PAD src0_sel:BYTE_0 src1_sel:DWORD
	v_sub_u16_e32 v4, v40, v4
	v_lshrrev_b16_e32 v5, 14, v5
	v_lshlrev_b32_e32 v59, 3, v4
	v_mul_lo_u16_e32 v5, 0x66, v5
	global_load_dwordx2 v[44:45], v37, s[8:9] offset:680
	global_load_dwordx2 v[50:51], v59, s[8:9] offset:680
	;; [unrolled: 1-line block ×3, first 2 shown]
	v_mov_b32_e32 v4, 3
	v_sub_u16_e32 v5, v48, v5
	v_lshlrev_b32_sdwa v60, v4, v5 dst_sel:DWORD dst_unused:UNUSED_PAD src0_sel:DWORD src1_sel:BYTE_0
	global_load_dwordx2 v[48:49], v60, s[8:9] offset:680
	v_add_u32_e32 v72, 0x800, v176
	v_add_u32_e32 v73, 0xc00, v176
	ds_read2_b64 v[4:7], v176 offset1:51
	ds_read2_b64 v[8:11], v176 offset0:102 offset1:153
	v_add_u32_e32 v74, 0x1000, v176
	ds_read_b64 v[54:55], v178
	ds_read_b64 v[56:57], v177
	ds_read2_b64 v[12:15], v176 offset0:204 offset1:255
	ds_read2_b64 v[16:19], v72 offset0:152 offset1:203
	;; [unrolled: 1-line block ×5, first 2 shown]
	v_add_u32_e32 v68, 0, v60
	v_add_u32_e32 v69, 0, v58
	;; [unrolled: 1-line block ×4, first 2 shown]
	s_waitcnt lgkmcnt(0)
	; wave barrier
	s_waitcnt lgkmcnt(0)
	s_movk_i32 s2, 0x1000
	s_waitcnt vmcnt(5)
	v_pk_mul_f32 v[58:59], v[42:43], v[16:17] op_sel:[0,1]
	v_pk_mul_f32 v[60:61], v[42:43], v[20:21] op_sel:[0,1]
	v_pk_fma_f32 v[62:63], v[42:43], v[16:17], v[58:59] op_sel:[0,0,1] op_sel_hi:[1,1,0] neg_lo:[0,0,1] neg_hi:[0,0,1]
	v_pk_fma_f32 v[16:17], v[42:43], v[16:17], v[58:59] op_sel:[0,0,1] op_sel_hi:[1,0,0]
	v_pk_fma_f32 v[58:59], v[42:43], v[20:21], v[60:61] op_sel:[0,0,1] op_sel_hi:[1,1,0] neg_lo:[0,0,1] neg_hi:[0,0,1]
	v_pk_fma_f32 v[20:21], v[42:43], v[20:21], v[60:61] op_sel:[0,0,1] op_sel_hi:[1,0,0]
	v_mov_b32_e32 v63, v17
	v_mov_b32_e32 v59, v21
	v_pk_add_f32 v[20:21], v[8:9], v[58:59] neg_lo:[0,1] neg_hi:[0,1]
	s_waitcnt vmcnt(4)
	v_pk_mul_f32 v[42:43], v[46:47], v[18:19] op_sel:[0,1]
	v_pk_mul_f32 v[58:59], v[46:47], v[22:23] op_sel:[0,1]
	s_waitcnt vmcnt(2)
	v_pk_mul_f32 v[60:61], v[26:27], v[50:51] op_sel:[0,1]
	v_pk_add_f32 v[16:17], v[4:5], v[62:63] neg_lo:[0,1] neg_hi:[0,1]
	s_waitcnt vmcnt(1)
	v_pk_mul_f32 v[62:63], v[24:25], v[52:53] op_sel:[0,1]
	v_pk_fma_f32 v[66:67], v[46:47], v[18:19], v[42:43] op_sel:[0,0,1] op_sel_hi:[1,1,0] neg_lo:[0,0,1] neg_hi:[0,0,1]
	v_pk_fma_f32 v[18:19], v[46:47], v[18:19], v[42:43] op_sel:[0,0,1] op_sel_hi:[1,0,0]
	v_pk_fma_f32 v[42:43], v[46:47], v[22:23], v[58:59] op_sel:[0,0,1] op_sel_hi:[1,1,0] neg_lo:[0,0,1] neg_hi:[0,0,1]
	v_pk_fma_f32 v[22:23], v[46:47], v[22:23], v[58:59] op_sel:[0,0,1] op_sel_hi:[1,0,0]
	;; [unrolled: 2-line block ×4, first 2 shown]
	v_mov_b32_e32 v47, v27
	v_mov_b32_e32 v51, v25
	v_pk_add_f32 v[24:25], v[54:55], v[46:47] neg_lo:[0,1] neg_hi:[0,1]
	s_waitcnt vmcnt(0)
	v_pk_mul_f32 v[46:47], v[28:29], v[48:49] op_sel:[0,1]
	v_pk_mul_f32 v[64:65], v[30:31], v[44:45] op_sel:[0,1]
	v_mov_b32_e32 v67, v19
	v_pk_add_f32 v[26:27], v[56:57], v[50:51] neg_lo:[0,1] neg_hi:[0,1]
	v_pk_fma_f32 v[50:51], v[28:29], v[48:49], v[46:47] op_sel:[0,0,1] op_sel_hi:[1,1,0] neg_lo:[0,0,1] neg_hi:[0,0,1]
	v_pk_fma_f32 v[28:29], v[28:29], v[48:49], v[46:47] op_sel:[0,0,1] op_sel_hi:[1,0,0]
	v_pk_fma_f32 v[52:53], v[30:31], v[44:45], v[64:65] op_sel:[0,0,1] op_sel_hi:[1,1,0] neg_lo:[0,0,1] neg_hi:[0,0,1]
	v_pk_fma_f32 v[30:31], v[30:31], v[44:45], v[64:65] op_sel:[0,0,1] op_sel_hi:[1,0,0]
	v_mov_b32_e32 v43, v23
	v_pk_add_f32 v[18:19], v[6:7], v[66:67] neg_lo:[0,1] neg_hi:[0,1]
	v_mov_b32_e32 v51, v29
	v_pk_fma_f32 v[4:5], v[4:5], 2.0, v[16:17] op_sel_hi:[1,0,1] neg_lo:[0,0,1] neg_hi:[0,0,1]
	v_mov_b32_e32 v53, v31
	v_pk_add_f32 v[22:23], v[10:11], v[42:43] neg_lo:[0,1] neg_hi:[0,1]
	v_pk_fma_f32 v[6:7], v[6:7], 2.0, v[18:19] op_sel_hi:[1,0,1] neg_lo:[0,0,1] neg_hi:[0,0,1]
	v_pk_add_f32 v[28:29], v[12:13], v[50:51] neg_lo:[0,1] neg_hi:[0,1]
	v_pk_fma_f32 v[8:9], v[8:9], 2.0, v[20:21] op_sel_hi:[1,0,1] neg_lo:[0,0,1] neg_hi:[0,0,1]
	;; [unrolled: 2-line block ×3, first 2 shown]
	v_pk_fma_f32 v[12:13], v[12:13], 2.0, v[28:29] op_sel_hi:[1,0,1] neg_lo:[0,0,1] neg_hi:[0,0,1]
	ds_write2_b64 v176, v[4:5], v[6:7] offset1:51
	ds_write2_b64 v176, v[16:17], v[18:19] offset0:102 offset1:153
	ds_write2_b64 v176, v[8:9], v[10:11] offset0:204 offset1:255
	;; [unrolled: 1-line block ×3, first 2 shown]
	v_add_u32_e32 v4, 0x800, v68
	v_pk_fma_f32 v[14:15], v[14:15], 2.0, v[30:31] op_sel_hi:[1,0,1] neg_lo:[0,0,1] neg_hi:[0,0,1]
	ds_write2_b64 v4, v[12:13], v[28:29] offset0:152 offset1:254
	v_add_u32_e32 v4, 0x800, v37
	v_pk_fma_f32 v[44:45], v[56:57], 2.0, v[26:27] op_sel_hi:[1,0,1] neg_lo:[0,0,1] neg_hi:[0,0,1]
	ds_write2_b64 v4, v[14:15], v[30:31] offset0:152 offset1:254
	v_add_u32_e32 v4, 0x1000, v69
	v_pk_fma_f32 v[42:43], v[54:55], 2.0, v[24:25] op_sel_hi:[1,0,1] neg_lo:[0,0,1] neg_hi:[0,0,1]
	ds_write2_b64 v4, v[44:45], v[26:27] offset0:100 offset1:202
	v_add_u32_e32 v4, 0x1000, v70
	ds_write2_b64 v4, v[42:43], v[24:25] offset0:100 offset1:202
	s_waitcnt lgkmcnt(0)
	; wave barrier
	s_waitcnt lgkmcnt(0)
	global_load_dwordx2 v[42:43], v[0:1], off offset:1496
	global_load_dwordx2 v[44:45], v[2:3], off offset:1904
	;; [unrolled: 1-line block ×4, first 2 shown]
	ds_read2_b64 v[4:7], v72 offset0:152 offset1:203
	ds_read2_b64 v[8:11], v73 offset0:126 offset1:177
	ds_read2_b64 v[12:15], v176 offset1:51
	ds_read2_b64 v[16:19], v176 offset0:102 offset1:153
	ds_read2_b64 v[20:23], v176 offset0:204 offset1:255
	;; [unrolled: 1-line block ×4, first 2 shown]
	ds_read_b64 v[50:51], v177
	ds_read_b64 v[52:53], v178
	s_waitcnt lgkmcnt(0)
	; wave barrier
	s_waitcnt vmcnt(3) lgkmcnt(0)
	v_pk_mul_f32 v[54:55], v[42:43], v[4:5] op_sel:[0,1]
	s_waitcnt vmcnt(2)
	v_pk_mul_f32 v[56:57], v[44:45], v[6:7] op_sel:[0,1]
	s_waitcnt vmcnt(1)
	;; [unrolled: 2-line block ×3, first 2 shown]
	v_pk_mul_f32 v[60:61], v[48:49], v[10:11] op_sel:[0,1]
	v_pk_mul_f32 v[62:63], v[24:25], v[42:43] op_sel:[0,1]
	;; [unrolled: 1-line block ×5, first 2 shown]
	v_pk_fma_f32 v[70:71], v[42:43], v[4:5], v[54:55] op_sel:[0,0,1] op_sel_hi:[1,1,0] neg_lo:[0,0,1] neg_hi:[0,0,1]
	v_pk_fma_f32 v[4:5], v[42:43], v[4:5], v[54:55] op_sel:[0,0,1] op_sel_hi:[1,0,0]
	v_pk_fma_f32 v[54:55], v[44:45], v[6:7], v[56:57] op_sel:[0,0,1] op_sel_hi:[1,1,0] neg_lo:[0,0,1] neg_hi:[0,0,1]
	v_pk_fma_f32 v[6:7], v[44:45], v[6:7], v[56:57] op_sel:[0,0,1] op_sel_hi:[1,0,0]
	;; [unrolled: 2-line block ×8, first 2 shown]
	v_mov_b32_e32 v71, v5
	v_mov_b32_e32 v55, v7
	;; [unrolled: 1-line block ×8, first 2 shown]
	v_pk_add_f32 v[4:5], v[12:13], v[70:71] neg_lo:[0,1] neg_hi:[0,1]
	v_pk_add_f32 v[6:7], v[14:15], v[54:55] neg_lo:[0,1] neg_hi:[0,1]
	;; [unrolled: 1-line block ×8, first 2 shown]
	v_pk_fma_f32 v[12:13], v[12:13], 2.0, v[4:5] op_sel_hi:[1,0,1] neg_lo:[0,0,1] neg_hi:[0,0,1]
	v_pk_fma_f32 v[14:15], v[14:15], 2.0, v[6:7] op_sel_hi:[1,0,1] neg_lo:[0,0,1] neg_hi:[0,0,1]
	;; [unrolled: 1-line block ×8, first 2 shown]
	ds_write2_b64 v176, v[12:13], v[14:15] offset1:51
	ds_write2_b64 v176, v[4:5], v[6:7] offset0:204 offset1:255
	ds_write2_b64 v176, v[16:17], v[18:19] offset0:102 offset1:153
	;; [unrolled: 1-line block ×7, first 2 shown]
	v_add_co_u32_e32 v4, vcc, s2, v2
	s_waitcnt lgkmcnt(0)
	; wave barrier
	s_waitcnt lgkmcnt(0)
	v_addc_co_u32_e32 v5, vcc, 0, v3, vcc
	v_lshl_add_u64 v[6:7], v[38:39], 3, s[8:9]
	v_lshl_add_u64 v[8:9], v[40:41], 3, s[8:9]
	global_load_dwordx2 v[28:29], v[0:1], off offset:3128
	global_load_dwordx2 v[30:31], v[2:3], off offset:3536
	;; [unrolled: 1-line block ×8, first 2 shown]
	ds_read2_b64 v[0:3], v72 offset0:152 offset1:203
	ds_read2_b64 v[4:7], v73 offset0:126 offset1:177
	ds_read2_b64 v[8:11], v176 offset1:51
	ds_read2_b64 v[12:15], v176 offset0:102 offset1:153
	ds_read2_b64 v[16:19], v176 offset0:204 offset1:255
	;; [unrolled: 1-line block ×4, first 2 shown]
	ds_read_b64 v[50:51], v177
	ds_read_b64 v[52:53], v178
	s_waitcnt lgkmcnt(0)
	; wave barrier
	s_waitcnt vmcnt(7) lgkmcnt(0)
	v_pk_mul_f32 v[54:55], v[28:29], v[0:1] op_sel:[0,1]
	s_waitcnt vmcnt(6)
	v_pk_mul_f32 v[56:57], v[30:31], v[2:3] op_sel:[0,1]
	s_waitcnt vmcnt(5)
	;; [unrolled: 2-line block ×7, first 2 shown]
	v_pk_mul_f32 v[68:69], v[26:27], v[48:49] op_sel:[0,1]
	v_pk_fma_f32 v[70:71], v[28:29], v[0:1], v[54:55] op_sel:[0,0,1] op_sel_hi:[1,1,0] neg_lo:[0,0,1] neg_hi:[0,0,1]
	v_pk_fma_f32 v[0:1], v[28:29], v[0:1], v[54:55] op_sel:[0,0,1] op_sel_hi:[1,0,0]
	v_pk_fma_f32 v[28:29], v[30:31], v[2:3], v[56:57] op_sel:[0,0,1] op_sel_hi:[1,1,0] neg_lo:[0,0,1] neg_hi:[0,0,1]
	v_pk_fma_f32 v[2:3], v[30:31], v[2:3], v[56:57] op_sel:[0,0,1] op_sel_hi:[1,0,0]
	;; [unrolled: 2-line block ×8, first 2 shown]
	v_mov_b32_e32 v71, v1
	v_mov_b32_e32 v29, v3
	;; [unrolled: 1-line block ×8, first 2 shown]
	v_pk_add_f32 v[0:1], v[8:9], v[70:71] neg_lo:[0,1] neg_hi:[0,1]
	v_pk_add_f32 v[2:3], v[10:11], v[28:29] neg_lo:[0,1] neg_hi:[0,1]
	v_pk_add_f32 v[4:5], v[12:13], v[30:31] neg_lo:[0,1] neg_hi:[0,1]
	v_pk_add_f32 v[6:7], v[14:15], v[38:39] neg_lo:[0,1] neg_hi:[0,1]
	v_pk_add_f32 v[20:21], v[16:17], v[40:41] neg_lo:[0,1] neg_hi:[0,1]
	v_pk_add_f32 v[22:23], v[18:19], v[42:43] neg_lo:[0,1] neg_hi:[0,1]
	v_pk_add_f32 v[24:25], v[50:51], v[44:45] neg_lo:[0,1] neg_hi:[0,1]
	v_pk_add_f32 v[26:27], v[52:53], v[46:47] neg_lo:[0,1] neg_hi:[0,1]
	v_pk_fma_f32 v[8:9], v[8:9], 2.0, v[0:1] op_sel_hi:[1,0,1] neg_lo:[0,0,1] neg_hi:[0,0,1]
	v_pk_fma_f32 v[10:11], v[10:11], 2.0, v[2:3] op_sel_hi:[1,0,1] neg_lo:[0,0,1] neg_hi:[0,0,1]
	v_pk_fma_f32 v[12:13], v[12:13], 2.0, v[4:5] op_sel_hi:[1,0,1] neg_lo:[0,0,1] neg_hi:[0,0,1]
	v_pk_fma_f32 v[14:15], v[14:15], 2.0, v[6:7] op_sel_hi:[1,0,1] neg_lo:[0,0,1] neg_hi:[0,0,1]
	v_pk_fma_f32 v[16:17], v[16:17], 2.0, v[20:21] op_sel_hi:[1,0,1] neg_lo:[0,0,1] neg_hi:[0,0,1]
	v_pk_fma_f32 v[18:19], v[18:19], 2.0, v[22:23] op_sel_hi:[1,0,1] neg_lo:[0,0,1] neg_hi:[0,0,1]
	v_pk_fma_f32 v[28:29], v[50:51], 2.0, v[24:25] op_sel_hi:[1,0,1] neg_lo:[0,0,1] neg_hi:[0,0,1]
	v_pk_fma_f32 v[30:31], v[52:53], 2.0, v[26:27] op_sel_hi:[1,0,1] neg_lo:[0,0,1] neg_hi:[0,0,1]
	ds_write2_b64 v72, v[0:1], v[2:3] offset0:152 offset1:203
	ds_write2_b64 v176, v[8:9], v[10:11] offset1:51
	ds_write2_b64 v176, v[12:13], v[14:15] offset0:102 offset1:153
	ds_write2_b64 v73, v[4:5], v[6:7] offset0:126 offset1:177
	;; [unrolled: 1-line block ×4, first 2 shown]
	ds_write_b64 v177, v[28:29]
	ds_write_b64 v177, v[24:25] offset:3264
	ds_write_b64 v178, v[30:31]
	ds_write_b64 v178, v[26:27] offset:3264
	s_waitcnt lgkmcnt(0)
	; wave barrier
	s_waitcnt lgkmcnt(0)
	s_and_saveexec_b64 s[2:3], s[0:1]
	s_cbranch_execz .LBB0_27
; %bb.26:
	v_mul_lo_u32 v0, s11, v34
	v_mul_lo_u32 v1, s10, v35
	v_mad_u64_u32 v[4:5], s[0:1], s10, v34, 0
	v_lshl_add_u32 v10, v36, 3, 0
	v_add3_u32 v5, v5, v1, v0
	ds_read2_b64 v[0:3], v10 offset1:51
	v_lshl_add_u64 v[4:5], v[4:5], 3, s[6:7]
	v_mov_b32_e32 v37, 0
	v_lshl_add_u64 v[8:9], v[32:33], 3, v[4:5]
	v_lshl_add_u64 v[4:5], v[36:37], 3, v[8:9]
	s_waitcnt lgkmcnt(0)
	global_store_dwordx2 v[4:5], v[0:1], off
	ds_read2_b64 v[4:7], v10 offset0:102 offset1:153
	v_add_u32_e32 v0, 51, v36
	v_mov_b32_e32 v1, v37
	v_lshl_add_u64 v[0:1], v[0:1], 3, v[8:9]
	global_store_dwordx2 v[0:1], v[2:3], off
	v_add_u32_e32 v0, 0x66, v36
	v_mov_b32_e32 v1, v37
	v_lshl_add_u64 v[0:1], v[0:1], 3, v[8:9]
	s_waitcnt lgkmcnt(0)
	global_store_dwordx2 v[0:1], v[4:5], off
	v_add_u32_e32 v0, 0x99, v36
	v_mov_b32_e32 v1, v37
	v_lshl_add_u64 v[4:5], v[0:1], 3, v[8:9]
	ds_read2_b64 v[0:3], v10 offset0:204 offset1:255
	global_store_dwordx2 v[4:5], v[6:7], off
	v_add_u32_e32 v4, 0xcc, v36
	v_mov_b32_e32 v5, v37
	v_lshl_add_u64 v[4:5], v[4:5], 3, v[8:9]
	v_add_u32_e32 v11, 0x800, v10
	s_waitcnt lgkmcnt(0)
	global_store_dwordx2 v[4:5], v[0:1], off
	ds_read2_b64 v[4:7], v11 offset0:50 offset1:101
	v_add_u32_e32 v0, 0xff, v36
	v_mov_b32_e32 v1, v37
	v_lshl_add_u64 v[0:1], v[0:1], 3, v[8:9]
	global_store_dwordx2 v[0:1], v[2:3], off
	v_add_u32_e32 v0, 0x132, v36
	v_mov_b32_e32 v1, v37
	v_lshl_add_u64 v[0:1], v[0:1], 3, v[8:9]
	s_waitcnt lgkmcnt(0)
	global_store_dwordx2 v[0:1], v[4:5], off
	v_add_u32_e32 v0, 0x165, v36
	v_mov_b32_e32 v1, v37
	v_lshl_add_u64 v[4:5], v[0:1], 3, v[8:9]
	ds_read2_b64 v[0:3], v11 offset0:152 offset1:203
	global_store_dwordx2 v[4:5], v[6:7], off
	v_add_u32_e32 v4, 0x198, v36
	v_mov_b32_e32 v5, v37
	v_lshl_add_u64 v[4:5], v[4:5], 3, v[8:9]
	s_waitcnt lgkmcnt(0)
	global_store_dwordx2 v[4:5], v[0:1], off
	v_add_u32_e32 v4, 0xc00, v10
	ds_read2_b64 v[4:7], v4 offset0:126 offset1:177
	v_add_u32_e32 v0, 0x1cb, v36
	v_mov_b32_e32 v1, v37
	v_lshl_add_u64 v[0:1], v[0:1], 3, v[8:9]
	global_store_dwordx2 v[0:1], v[2:3], off
	v_add_u32_e32 v0, 0x1fe, v36
	v_mov_b32_e32 v1, v37
	v_lshl_add_u64 v[0:1], v[0:1], 3, v[8:9]
	s_waitcnt lgkmcnt(0)
	global_store_dwordx2 v[0:1], v[4:5], off
	v_add_u32_e32 v0, 0x231, v36
	v_mov_b32_e32 v1, v37
	v_add_u32_e32 v10, 0x1000, v10
	v_lshl_add_u64 v[4:5], v[0:1], 3, v[8:9]
	ds_read2_b64 v[0:3], v10 offset0:100 offset1:151
	global_store_dwordx2 v[4:5], v[6:7], off
	v_add_u32_e32 v4, 0x264, v36
	v_mov_b32_e32 v5, v37
	v_lshl_add_u64 v[4:5], v[4:5], 3, v[8:9]
	s_waitcnt lgkmcnt(0)
	global_store_dwordx2 v[4:5], v[0:1], off
	ds_read2_b64 v[4:7], v10 offset0:202 offset1:253
	v_add_u32_e32 v0, 0x297, v36
	v_mov_b32_e32 v1, v37
	v_lshl_add_u64 v[0:1], v[0:1], 3, v[8:9]
	global_store_dwordx2 v[0:1], v[2:3], off
	v_add_u32_e32 v0, 0x2ca, v36
	v_mov_b32_e32 v1, v37
	v_lshl_add_u64 v[0:1], v[0:1], 3, v[8:9]
	v_add_u32_e32 v36, 0x2fd, v36
	s_waitcnt lgkmcnt(0)
	global_store_dwordx2 v[0:1], v[4:5], off
	v_lshl_add_u64 v[0:1], v[36:37], 3, v[8:9]
	global_store_dwordx2 v[0:1], v[6:7], off
.LBB0_27:
	s_endpgm
	.section	.rodata,"a",@progbits
	.p2align	6, 0x0
	.amdhsa_kernel fft_rtc_fwd_len816_factors_17_2_3_2_2_2_wgs_51_tpt_51_halfLds_sp_op_CI_CI_unitstride_sbrr_C2R_dirReg
		.amdhsa_group_segment_fixed_size 0
		.amdhsa_private_segment_fixed_size 0
		.amdhsa_kernarg_size 104
		.amdhsa_user_sgpr_count 2
		.amdhsa_user_sgpr_dispatch_ptr 0
		.amdhsa_user_sgpr_queue_ptr 0
		.amdhsa_user_sgpr_kernarg_segment_ptr 1
		.amdhsa_user_sgpr_dispatch_id 0
		.amdhsa_user_sgpr_kernarg_preload_length 0
		.amdhsa_user_sgpr_kernarg_preload_offset 0
		.amdhsa_user_sgpr_private_segment_size 0
		.amdhsa_uses_dynamic_stack 0
		.amdhsa_enable_private_segment 0
		.amdhsa_system_sgpr_workgroup_id_x 1
		.amdhsa_system_sgpr_workgroup_id_y 0
		.amdhsa_system_sgpr_workgroup_id_z 0
		.amdhsa_system_sgpr_workgroup_info 0
		.amdhsa_system_vgpr_workitem_id 0
		.amdhsa_next_free_vgpr 254
		.amdhsa_next_free_sgpr 56
		.amdhsa_accum_offset 256
		.amdhsa_reserve_vcc 1
		.amdhsa_float_round_mode_32 0
		.amdhsa_float_round_mode_16_64 0
		.amdhsa_float_denorm_mode_32 3
		.amdhsa_float_denorm_mode_16_64 3
		.amdhsa_dx10_clamp 1
		.amdhsa_ieee_mode 1
		.amdhsa_fp16_overflow 0
		.amdhsa_tg_split 0
		.amdhsa_exception_fp_ieee_invalid_op 0
		.amdhsa_exception_fp_denorm_src 0
		.amdhsa_exception_fp_ieee_div_zero 0
		.amdhsa_exception_fp_ieee_overflow 0
		.amdhsa_exception_fp_ieee_underflow 0
		.amdhsa_exception_fp_ieee_inexact 0
		.amdhsa_exception_int_div_zero 0
	.end_amdhsa_kernel
	.text
.Lfunc_end0:
	.size	fft_rtc_fwd_len816_factors_17_2_3_2_2_2_wgs_51_tpt_51_halfLds_sp_op_CI_CI_unitstride_sbrr_C2R_dirReg, .Lfunc_end0-fft_rtc_fwd_len816_factors_17_2_3_2_2_2_wgs_51_tpt_51_halfLds_sp_op_CI_CI_unitstride_sbrr_C2R_dirReg
                                        ; -- End function
	.section	.AMDGPU.csdata,"",@progbits
; Kernel info:
; codeLenInByte = 12108
; NumSgprs: 62
; NumVgprs: 254
; NumAgprs: 0
; TotalNumVgprs: 254
; ScratchSize: 0
; MemoryBound: 0
; FloatMode: 240
; IeeeMode: 1
; LDSByteSize: 0 bytes/workgroup (compile time only)
; SGPRBlocks: 7
; VGPRBlocks: 31
; NumSGPRsForWavesPerEU: 62
; NumVGPRsForWavesPerEU: 254
; AccumOffset: 256
; Occupancy: 2
; WaveLimiterHint : 1
; COMPUTE_PGM_RSRC2:SCRATCH_EN: 0
; COMPUTE_PGM_RSRC2:USER_SGPR: 2
; COMPUTE_PGM_RSRC2:TRAP_HANDLER: 0
; COMPUTE_PGM_RSRC2:TGID_X_EN: 1
; COMPUTE_PGM_RSRC2:TGID_Y_EN: 0
; COMPUTE_PGM_RSRC2:TGID_Z_EN: 0
; COMPUTE_PGM_RSRC2:TIDIG_COMP_CNT: 0
; COMPUTE_PGM_RSRC3_GFX90A:ACCUM_OFFSET: 63
; COMPUTE_PGM_RSRC3_GFX90A:TG_SPLIT: 0
	.text
	.p2alignl 6, 3212836864
	.fill 256, 4, 3212836864
	.type	__hip_cuid_f54a5504646e3637,@object ; @__hip_cuid_f54a5504646e3637
	.section	.bss,"aw",@nobits
	.globl	__hip_cuid_f54a5504646e3637
__hip_cuid_f54a5504646e3637:
	.byte	0                               ; 0x0
	.size	__hip_cuid_f54a5504646e3637, 1

	.ident	"AMD clang version 19.0.0git (https://github.com/RadeonOpenCompute/llvm-project roc-6.4.0 25133 c7fe45cf4b819c5991fe208aaa96edf142730f1d)"
	.section	".note.GNU-stack","",@progbits
	.addrsig
	.addrsig_sym __hip_cuid_f54a5504646e3637
	.amdgpu_metadata
---
amdhsa.kernels:
  - .agpr_count:     0
    .args:
      - .actual_access:  read_only
        .address_space:  global
        .offset:         0
        .size:           8
        .value_kind:     global_buffer
      - .offset:         8
        .size:           8
        .value_kind:     by_value
      - .actual_access:  read_only
        .address_space:  global
        .offset:         16
        .size:           8
        .value_kind:     global_buffer
      - .actual_access:  read_only
        .address_space:  global
        .offset:         24
        .size:           8
        .value_kind:     global_buffer
      - .actual_access:  read_only
        .address_space:  global
        .offset:         32
        .size:           8
        .value_kind:     global_buffer
      - .offset:         40
        .size:           8
        .value_kind:     by_value
      - .actual_access:  read_only
        .address_space:  global
        .offset:         48
        .size:           8
        .value_kind:     global_buffer
      - .actual_access:  read_only
        .address_space:  global
        .offset:         56
        .size:           8
        .value_kind:     global_buffer
      - .offset:         64
        .size:           4
        .value_kind:     by_value
      - .actual_access:  read_only
        .address_space:  global
        .offset:         72
        .size:           8
        .value_kind:     global_buffer
      - .actual_access:  read_only
        .address_space:  global
        .offset:         80
        .size:           8
        .value_kind:     global_buffer
      - .actual_access:  read_only
        .address_space:  global
        .offset:         88
        .size:           8
        .value_kind:     global_buffer
      - .actual_access:  write_only
        .address_space:  global
        .offset:         96
        .size:           8
        .value_kind:     global_buffer
    .group_segment_fixed_size: 0
    .kernarg_segment_align: 8
    .kernarg_segment_size: 104
    .language:       OpenCL C
    .language_version:
      - 2
      - 0
    .max_flat_workgroup_size: 51
    .name:           fft_rtc_fwd_len816_factors_17_2_3_2_2_2_wgs_51_tpt_51_halfLds_sp_op_CI_CI_unitstride_sbrr_C2R_dirReg
    .private_segment_fixed_size: 0
    .sgpr_count:     62
    .sgpr_spill_count: 0
    .symbol:         fft_rtc_fwd_len816_factors_17_2_3_2_2_2_wgs_51_tpt_51_halfLds_sp_op_CI_CI_unitstride_sbrr_C2R_dirReg.kd
    .uniform_work_group_size: 1
    .uses_dynamic_stack: false
    .vgpr_count:     254
    .vgpr_spill_count: 0
    .wavefront_size: 64
amdhsa.target:   amdgcn-amd-amdhsa--gfx950
amdhsa.version:
  - 1
  - 2
...

	.end_amdgpu_metadata
